;; amdgpu-corpus repo=ROCm/rocFFT kind=compiled arch=gfx950 opt=O3
	.text
	.amdgcn_target "amdgcn-amd-amdhsa--gfx950"
	.amdhsa_code_object_version 6
	.protected	bluestein_single_fwd_len408_dim1_sp_op_CI_CI ; -- Begin function bluestein_single_fwd_len408_dim1_sp_op_CI_CI
	.globl	bluestein_single_fwd_len408_dim1_sp_op_CI_CI
	.p2align	8
	.type	bluestein_single_fwd_len408_dim1_sp_op_CI_CI,@function
bluestein_single_fwd_len408_dim1_sp_op_CI_CI: ; @bluestein_single_fwd_len408_dim1_sp_op_CI_CI
; %bb.0:
	s_load_dwordx4 s[4:7], s[0:1], 0x28
	v_mul_u32_u24_e32 v1, 0xf10, v0
	v_lshrrev_b32_e32 v2, 16, v1
	v_mad_u64_u32 v[6:7], s[2:3], s2, 3, v[2:3]
	v_mov_b32_e32 v77, 0
	v_mov_b32_e32 v7, v77
	s_waitcnt lgkmcnt(0)
	v_cmp_gt_u64_e32 vcc, s[4:5], v[6:7]
	s_and_saveexec_b64 s[2:3], vcc
	s_cbranch_execz .LBB0_15
; %bb.1:
	s_load_dwordx4 s[16:19], s[0:1], 0x18
	s_load_dwordx2 s[12:13], s[0:1], 0x0
	s_load_dwordx2 s[2:3], s[0:1], 0x38
	v_mul_lo_u16_e32 v1, 17, v2
	v_sub_u16_e32 v76, v0, v1
	s_waitcnt lgkmcnt(0)
	s_load_dwordx4 s[8:11], s[16:17], 0x0
	v_accvgpr_write_b32 a26, v6
	v_mov_b32_e32 v4, s6
	v_mov_b32_e32 v5, s7
	s_load_dwordx4 s[4:7], s[18:19], 0x0
	s_waitcnt lgkmcnt(0)
	v_mad_u64_u32 v[0:1], s[14:15], s10, v6, 0
	v_mov_b32_e32 v2, v1
	v_mad_u64_u32 v[2:3], s[10:11], s11, v6, v[2:3]
	s_mov_b32 s10, 0xaaaaaaab
	v_mov_b32_e32 v1, v2
	v_mul_hi_u32 v2, v6, s10
	v_lshrrev_b32_e32 v2, 1, v2
	v_lshl_add_u32 v2, v2, 1, v2
	v_sub_u32_e32 v40, v6, v2
	v_mad_u64_u32 v[2:3], s[10:11], s8, v76, 0
	v_mov_b32_e32 v6, v3
	v_mad_u64_u32 v[6:7], s[10:11], s9, v76, v[6:7]
	s_mul_i32 s10, s9, 24
	s_mul_hi_u32 s11, s8, 24
	v_mov_b32_e32 v3, v6
	v_lshl_add_u64 v[4:5], v[0:1], 3, v[4:5]
	s_add_i32 s11, s11, s10
	s_mul_i32 s10, s8, 24
	v_lshl_add_u64 v[0:1], v[2:3], 3, v[4:5]
	s_lshl_b64 s[10:11], s[10:11], 3
	v_lshl_add_u64 v[2:3], v[0:1], 0, s[10:11]
	v_lshl_add_u64 v[6:7], v[2:3], 0, s[10:11]
	v_lshlrev_b32_e32 v74, 3, v76
	v_lshl_add_u64 v[8:9], v[6:7], 0, s[10:11]
	global_load_dwordx2 v[10:11], v[0:1], off
	global_load_dwordx2 v[12:13], v[2:3], off
	;; [unrolled: 1-line block ×4, first 2 shown]
	global_load_dwordx2 v[72:73], v74, s[12:13]
	global_load_dwordx2 v[70:71], v74, s[12:13] offset:192
	global_load_dwordx2 v[64:65], v74, s[12:13] offset:384
	;; [unrolled: 1-line block ×3, first 2 shown]
	v_or_b32_e32 v3, 0x60, v76
	v_mad_u64_u32 v[0:1], s[14:15], s8, v3, 0
	v_mov_b32_e32 v2, v1
	v_accvgpr_write_b32 a27, v3
	v_mad_u64_u32 v[2:3], s[14:15], s9, v3, v[2:3]
	v_mov_b32_e32 v1, v2
	v_lshl_add_u64 v[0:1], v[0:1], 3, v[4:5]
	v_mov_b32_e32 v32, 0x180
	global_load_dwordx2 v[2:3], v[0:1], off
	v_mad_u64_u32 v[0:1], s[14:15], s8, v32, v[8:9]
	s_mul_i32 s16, s9, 0x180
	v_or_b32_e32 v23, 0xc0, v76
	v_add_u32_e32 v1, s16, v1
	v_mad_u64_u32 v[20:21], s[14:15], s8, v23, 0
	global_load_dwordx2 v[6:7], v[0:1], off
	v_lshl_add_u64 v[0:1], v[0:1], 0, s[10:11]
	v_mov_b32_e32 v22, v21
	global_load_dwordx2 v[8:9], v[0:1], off
	v_lshl_add_u64 v[0:1], v[0:1], 0, s[10:11]
	v_accvgpr_write_b32 a9, v23
	v_mad_u64_u32 v[22:23], s[14:15], s9, v23, v[22:23]
	global_load_dwordx2 v[68:69], v74, s[12:13] offset:768
	global_load_dwordx2 v[18:19], v[0:1], off
	global_load_dwordx2 v[66:67], v74, s[12:13] offset:960
	global_load_dwordx2 v[60:61], v74, s[12:13] offset:1152
	global_load_dwordx2 v[54:55], v74, s[12:13] offset:1344
	v_mov_b32_e32 v21, v22
	v_mad_u64_u32 v[0:1], s[14:15], s8, v32, v[0:1]
	v_or_b32_e32 v31, 0x120, v76
	v_lshl_add_u64 v[20:21], v[20:21], 3, v[4:5]
	v_add_u32_e32 v1, s16, v1
	v_mad_u64_u32 v[28:29], s[14:15], s8, v31, 0
	global_load_dwordx2 v[20:21], v[20:21], off
	s_nop 0
	global_load_dwordx2 v[22:23], v[0:1], off
	global_load_dwordx2 v[56:57], v74, s[12:13] offset:1536
	v_mov_b32_e32 v30, v29
	v_lshl_add_u64 v[0:1], v[0:1], 0, s[10:11]
	v_accvgpr_write_b32 a8, v31
	v_mad_u64_u32 v[30:31], s[14:15], s9, v31, v[30:31]
	global_load_dwordx2 v[24:25], v[0:1], off
	v_lshl_add_u64 v[0:1], v[0:1], 0, s[10:11]
	v_mov_b32_e32 v29, v30
	global_load_dwordx2 v[58:59], v74, s[12:13] offset:1728
	global_load_dwordx2 v[26:27], v[0:1], off
	global_load_dwordx2 v[52:53], v74, s[12:13] offset:1920
	global_load_dwordx2 v[46:47], v74, s[12:13] offset:2112
	v_lshl_add_u64 v[28:29], v[28:29], 3, v[4:5]
	v_mad_u64_u32 v[0:1], s[14:15], s8, v32, v[0:1]
	v_or_b32_e32 v39, 0x180, v76
	global_load_dwordx2 v[28:29], v[28:29], off
	v_add_u32_e32 v1, s16, v1
	global_load_dwordx2 v[50:51], v74, s[12:13] offset:2304
	v_mad_u64_u32 v[36:37], s[14:15], s8, v39, 0
	global_load_dwordx2 v[30:31], v[0:1], off
	v_lshl_add_u64 v[0:1], v[0:1], 0, s[10:11]
	v_mov_b32_e32 v38, v37
	global_load_dwordx2 v[48:49], v74, s[12:13] offset:2496
	global_load_dwordx2 v[32:33], v[0:1], off
	v_lshl_add_u64 v[0:1], v[0:1], 0, s[10:11]
	v_accvgpr_write_b32 a3, v39
	v_mad_u64_u32 v[38:39], s[14:15], s9, v39, v[38:39]
	global_load_dwordx2 v[34:35], v[0:1], off
	global_load_dwordx2 v[44:45], v74, s[12:13] offset:2688
	global_load_dwordx2 v[42:43], v74, s[12:13] offset:2880
	v_mov_b32_e32 v37, v38
	v_lshl_add_u64 v[4:5], v[36:37], 3, v[4:5]
	global_load_dwordx2 v[36:37], v[4:5], off
	global_load_dwordx2 v[38:39], v74, s[12:13] offset:3072
	v_mov_b32_e32 v75, v77
	v_lshl_add_u64 v[4:5], s[12:13], 0, v[74:75]
	v_accvgpr_write_b32 a0, v4
	v_mul_u32_u24_e32 v40, 0x198, v40
	v_accvgpr_write_b32 a1, v5
	v_lshlrev_b32_e32 v96, 3, v40
	v_accvgpr_write_b32 a44, v74
	v_add_u32_e32 v74, v74, v96
	v_accvgpr_write_b32 a45, v40
	s_waitcnt vmcnt(29)
	v_mul_f32_e32 v4, v11, v73
	v_mul_f32_e32 v5, v10, v73
	v_fmac_f32_e32 v4, v10, v72
	v_fma_f32 v5, v11, v72, -v5
	s_waitcnt vmcnt(28)
	v_mul_f32_e32 v10, v13, v71
	v_mul_f32_e32 v11, v12, v71
	v_fmac_f32_e32 v10, v12, v70
	v_fma_f32 v11, v13, v70, -v11
	ds_write2_b64 v74, v[4:5], v[10:11] offset1:24
	s_waitcnt vmcnt(27)
	v_mul_f32_e32 v4, v15, v65
	v_mul_f32_e32 v5, v14, v65
	s_waitcnt vmcnt(26)
	v_mul_f32_e32 v10, v17, v63
	v_mul_f32_e32 v11, v16, v63
	v_fmac_f32_e32 v4, v14, v64
	v_fma_f32 v5, v15, v64, -v5
	v_fmac_f32_e32 v10, v16, v62
	v_fma_f32 v11, v17, v62, -v11
	ds_write2_b64 v74, v[4:5], v[10:11] offset0:48 offset1:72
	v_accvgpr_write_b32 a42, v72
	v_accvgpr_write_b32 a40, v70
	;; [unrolled: 1-line block ×8, first 2 shown]
	s_waitcnt vmcnt(22)
	v_mul_f32_e32 v4, v3, v69
	v_fmac_f32_e32 v4, v2, v68
	v_mul_f32_e32 v2, v2, v69
	v_fma_f32 v5, v3, v68, -v2
	s_waitcnt vmcnt(20)
	v_mul_f32_e32 v2, v7, v67
	v_mul_f32_e32 v3, v6, v67
	v_fmac_f32_e32 v2, v6, v66
	v_fma_f32 v3, v7, v66, -v3
	ds_write2_b64 v74, v[4:5], v[2:3] offset0:96 offset1:120
	s_waitcnt vmcnt(19)
	v_mul_f32_e32 v2, v9, v61
	v_mul_f32_e32 v3, v8, v61
	s_waitcnt vmcnt(18)
	v_mul_f32_e32 v4, v19, v55
	v_mul_f32_e32 v5, v18, v55
	v_fmac_f32_e32 v2, v8, v60
	v_fma_f32 v3, v9, v60, -v3
	v_fmac_f32_e32 v4, v18, v54
	v_fma_f32 v5, v19, v54, -v5
	ds_write2_b64 v74, v[2:3], v[4:5] offset0:144 offset1:168
	s_waitcnt vmcnt(15)
	v_mul_f32_e32 v2, v21, v57
	v_mul_f32_e32 v3, v20, v57
	s_waitcnt vmcnt(13)
	v_mul_f32_e32 v4, v23, v59
	v_mul_f32_e32 v5, v22, v59
	v_fmac_f32_e32 v2, v20, v56
	v_fma_f32 v3, v21, v56, -v3
	v_fmac_f32_e32 v4, v22, v58
	v_fma_f32 v5, v23, v58, -v5
	ds_write2_b64 v74, v[2:3], v[4:5] offset0:192 offset1:216
	s_waitcnt vmcnt(11)
	v_mul_f32_e32 v2, v24, v53
	v_mul_f32_e32 v4, v25, v53
	v_fma_f32 v5, v25, v52, -v2
	s_waitcnt vmcnt(10)
	v_mul_f32_e32 v6, v27, v47
	v_mul_f32_e32 v2, v26, v47
	v_fmac_f32_e32 v4, v24, v52
	v_fmac_f32_e32 v6, v26, v46
	v_fma_f32 v7, v27, v46, -v2
	v_add_u32_e32 v2, 0x400, v74
	s_waitcnt vmcnt(8)
	v_mul_f32_e32 v3, v28, v51
	ds_write2_b64 v2, v[4:5], v[6:7] offset0:112 offset1:136
	v_mul_f32_e32 v4, v29, v51
	v_fma_f32 v5, v29, v50, -v3
	s_waitcnt vmcnt(6)
	v_mul_f32_e32 v6, v31, v49
	v_mul_f32_e32 v3, v30, v49
	v_fmac_f32_e32 v4, v28, v50
	v_fmac_f32_e32 v6, v30, v48
	v_fma_f32 v7, v31, v48, -v3
	v_add_u32_e32 v3, 0x800, v74
	ds_write2_b64 v3, v[4:5], v[6:7] offset0:32 offset1:56
	s_waitcnt vmcnt(3)
	v_mul_f32_e32 v4, v33, v45
	v_mul_f32_e32 v5, v32, v45
	s_waitcnt vmcnt(2)
	v_mul_f32_e32 v6, v35, v43
	v_mul_f32_e32 v7, v34, v43
	v_fmac_f32_e32 v4, v32, v44
	v_fma_f32 v5, v33, v44, -v5
	v_fmac_f32_e32 v6, v34, v42
	v_fma_f32 v7, v35, v42, -v7
	v_accvgpr_write_b32 a38, v68
	v_accvgpr_write_b32 a36, v66
	;; [unrolled: 1-line block ×12, first 2 shown]
	ds_write2_b64 v3, v[4:5], v[6:7] offset0:80 offset1:104
	s_waitcnt vmcnt(0)
	v_mul_f32_e32 v4, v37, v39
	v_mul_f32_e32 v5, v36, v39
	v_accvgpr_write_b32 a4, v38
	v_accvgpr_write_b32 a39, v69
	;; [unrolled: 1-line block ×13, first 2 shown]
	v_fmac_f32_e32 v4, v36, v38
	v_accvgpr_write_b32 a5, v39
	v_fma_f32 v5, v37, v38, -v5
	v_cmp_gt_u16_e32 vcc, 7, v76
	ds_write_b64 v74, v[4:5] offset:3072
	s_and_saveexec_b64 s[14:15], vcc
	s_cbranch_execz .LBB0_3
; %bb.2:
	v_mov_b32_e32 v4, 0xfffff548
	s_mulk_i32 s9, 0xf548
	v_mad_u64_u32 v[0:1], s[16:17], s8, v4, v[0:1]
	s_sub_i32 s8, s9, s8
	v_accvgpr_read_b32 v65, a1
	v_add_u32_e32 v1, s8, v1
	v_accvgpr_read_b32 v64, a0
	global_load_dwordx2 v[4:5], v[0:1], off
	global_load_dwordx2 v[6:7], v[64:65], off offset:136
	v_lshl_add_u64 v[0:1], v[0:1], 0, s[10:11]
	global_load_dwordx2 v[8:9], v[0:1], off
	global_load_dwordx2 v[10:11], v[64:65], off offset:328
	v_lshl_add_u64 v[0:1], v[0:1], 0, s[10:11]
	global_load_dwordx2 v[12:13], v[0:1], off
	global_load_dwordx2 v[14:15], v[64:65], off offset:520
	global_load_dwordx2 v[16:17], v[64:65], off offset:712
	v_lshl_add_u64 v[0:1], v[0:1], 0, s[10:11]
	global_load_dwordx2 v[18:19], v[0:1], off
	v_lshl_add_u64 v[0:1], v[0:1], 0, s[10:11]
	global_load_dwordx2 v[20:21], v[0:1], off
	global_load_dwordx2 v[22:23], v[64:65], off offset:904
	v_lshl_add_u64 v[0:1], v[0:1], 0, s[10:11]
	global_load_dwordx2 v[24:25], v[0:1], off
	global_load_dwordx2 v[26:27], v[64:65], off offset:1096
	v_lshl_add_u64 v[0:1], v[0:1], 0, s[10:11]
	global_load_dwordx2 v[28:29], v[0:1], off
	global_load_dwordx2 v[30:31], v[64:65], off offset:1288
	global_load_dwordx2 v[32:33], v[64:65], off offset:1480
	v_lshl_add_u64 v[0:1], v[0:1], 0, s[10:11]
	global_load_dwordx2 v[34:35], v[0:1], off
	v_lshl_add_u64 v[0:1], v[0:1], 0, s[10:11]
	;; [unrolled: 12-line block ×3, first 2 shown]
	global_load_dwordx2 v[52:53], v[0:1], off
	global_load_dwordx2 v[54:55], v[64:65], off offset:2440
	v_lshl_add_u64 v[0:1], v[0:1], 0, s[10:11]
	global_load_dwordx2 v[56:57], v[0:1], off
	global_load_dwordx2 v[58:59], v[64:65], off offset:2632
	v_lshl_add_u64 v[0:1], v[0:1], 0, s[10:11]
	global_load_dwordx2 v[60:61], v[0:1], off
	global_load_dwordx2 v[62:63], v[64:65], off offset:2824
	global_load_dwordx2 v[66:67], v[64:65], off offset:3016
	v_lshl_add_u64 v[0:1], v[0:1], 0, s[10:11]
	global_load_dwordx2 v[68:69], v[0:1], off
	global_load_dwordx2 v[70:71], v[64:65], off offset:3208
	v_lshl_add_u64 v[0:1], v[0:1], 0, s[10:11]
	global_load_dwordx2 v[0:1], v[0:1], off
	s_waitcnt vmcnt(32)
	v_mul_f32_e32 v72, v5, v7
	v_mul_f32_e32 v7, v4, v7
	v_fmac_f32_e32 v72, v4, v6
	v_fma_f32 v73, v5, v6, -v7
	s_waitcnt vmcnt(30)
	v_mul_f32_e32 v4, v9, v11
	v_mul_f32_e32 v5, v8, v11
	v_fmac_f32_e32 v4, v8, v10
	v_fma_f32 v5, v9, v10, -v5
	s_waitcnt vmcnt(28)
	v_mul_f32_e32 v6, v13, v15
	v_mul_f32_e32 v7, v12, v15
	ds_write2_b64 v74, v[72:73], v[4:5] offset0:17 offset1:41
	s_waitcnt vmcnt(26)
	v_mul_f32_e32 v4, v19, v17
	v_mul_f32_e32 v5, v18, v17
	v_fmac_f32_e32 v6, v12, v14
	v_fma_f32 v7, v13, v14, -v7
	v_fmac_f32_e32 v4, v18, v16
	v_fma_f32 v5, v19, v16, -v5
	s_waitcnt vmcnt(24)
	v_mul_f32_e32 v8, v21, v23
	v_mul_f32_e32 v9, v20, v23
	ds_write2_b64 v74, v[6:7], v[4:5] offset0:65 offset1:89
	s_waitcnt vmcnt(22)
	v_mul_f32_e32 v4, v25, v27
	v_mul_f32_e32 v5, v24, v27
	v_fmac_f32_e32 v8, v20, v22
	v_fma_f32 v9, v21, v22, -v9
	;; [unrolled: 11-line block ×3, first 2 shown]
	v_fmac_f32_e32 v4, v34, v32
	v_fma_f32 v5, v35, v32, -v5
	ds_write2_b64 v74, v[6:7], v[4:5] offset0:161 offset1:185
	s_waitcnt vmcnt(16)
	v_mul_f32_e32 v4, v36, v39
	v_mul_f32_e32 v8, v37, v39
	v_fma_f32 v9, v37, v38, -v4
	s_waitcnt vmcnt(14)
	v_mul_f32_e32 v4, v41, v43
	v_mul_f32_e32 v5, v40, v43
	v_fmac_f32_e32 v8, v36, v38
	v_fmac_f32_e32 v4, v40, v42
	v_fma_f32 v5, v41, v42, -v5
	ds_write2_b64 v74, v[8:9], v[4:5] offset0:209 offset1:233
	s_waitcnt vmcnt(12)
	v_mul_f32_e32 v4, v45, v47
	v_mul_f32_e32 v5, v44, v47
	s_waitcnt vmcnt(10)
	v_mul_f32_e32 v6, v51, v49
	v_mul_f32_e32 v7, v50, v49
	v_fmac_f32_e32 v4, v44, v46
	v_fma_f32 v5, v45, v46, -v5
	v_fmac_f32_e32 v6, v50, v48
	v_fma_f32 v7, v51, v48, -v7
	ds_write2_b64 v3, v[4:5], v[6:7] offset0:1 offset1:25
	s_waitcnt vmcnt(8)
	v_mul_f32_e32 v4, v53, v55
	v_mul_f32_e32 v5, v52, v55
	s_waitcnt vmcnt(6)
	v_mul_f32_e32 v6, v57, v59
	v_mul_f32_e32 v7, v56, v59
	v_fmac_f32_e32 v4, v52, v54
	v_fma_f32 v5, v53, v54, -v5
	;; [unrolled: 11-line block ×3, first 2 shown]
	v_fmac_f32_e32 v6, v68, v66
	v_fma_f32 v7, v69, v66, -v7
	ds_write2_b64 v3, v[4:5], v[6:7] offset0:97 offset1:121
	s_waitcnt vmcnt(0)
	v_mul_f32_e32 v4, v1, v71
	v_fmac_f32_e32 v4, v0, v70
	v_mul_f32_e32 v0, v0, v71
	v_fma_f32 v5, v1, v70, -v0
	ds_write_b64 v74, v[4:5] offset:3208
.LBB0_3:
	s_or_b64 exec, exec, s[14:15]
	s_waitcnt lgkmcnt(0)
	; wave barrier
	s_waitcnt lgkmcnt(0)
	ds_read2_b64 v[32:35], v74 offset1:24
	ds_read2_b64 v[60:63], v74 offset0:48 offset1:72
	ds_read2_b64 v[56:59], v74 offset0:96 offset1:120
	;; [unrolled: 1-line block ×7, first 2 shown]
	s_load_dwordx2 s[0:1], s[0:1], 0x8
	ds_read_b64 v[78:79], v74 offset:3072
	v_accvgpr_write_b32 a20, v76
	v_accvgpr_write_b32 a21, v77
	;; [unrolled: 1-line block ×3, first 2 shown]
	v_mov_b32_e32 v190, 0
	v_mov_b32_e32 v191, 0
                                        ; implicit-def: $vgpr10
                                        ; implicit-def: $agpr54
                                        ; implicit-def: $agpr52
                                        ; implicit-def: $agpr62
                                        ; implicit-def: $agpr60
                                        ; implicit-def: $agpr70
                                        ; implicit-def: $agpr74
                                        ; implicit-def: $agpr68
	s_and_saveexec_b64 s[8:9], vcc
	s_cbranch_execz .LBB0_5
; %bb.4:
	v_accvgpr_read_b32 v1, a2
	ds_read2_b64 v[190:193], v1 offset0:17 offset1:41
	ds_read2_b64 a[66:69], v1 offset0:65 offset1:89
	;; [unrolled: 1-line block ×5, first 2 shown]
	v_add_u32_e32 v0, 0x800, v1
	ds_read2_b64 a[54:57], v0 offset0:1 offset1:25
	ds_read2_b64 a[62:65], v0 offset0:49 offset1:73
	;; [unrolled: 1-line block ×3, first 2 shown]
	ds_read_b64 a[70:71], v1 offset:3208
.LBB0_5:
	s_or_b64 exec, exec, s[8:9]
	s_waitcnt lgkmcnt(0)
	v_pk_add_f32 v[4:5], v[32:33], v[34:35]
	v_accvgpr_read_b32 v0, a66
	v_pk_add_f32 v[4:5], v[4:5], v[60:61]
	v_accvgpr_read_b32 v197, a75
	;; [unrolled: 2-line block ×5, first 2 shown]
	v_accvgpr_read_b32 v195, a73
	v_accvgpr_read_b32 v194, a72
	;; [unrolled: 1-line block ×3, first 2 shown]
	v_pk_add_f32 v[110:111], v[40:41], v[58:59]
	v_pk_add_f32 v[82:83], v[58:59], v[40:41] neg_lo:[0,1] neg_hi:[0,1]
	v_pk_add_f32 v[58:59], v[194:195], v[2:3]
	v_pk_add_f32 v[28:29], v[2:3], v[194:195] neg_lo:[0,1] neg_hi:[0,1]
	v_accvgpr_read_b32 v0, a58
	v_accvgpr_read_b32 v5, a63
	s_mov_b32 s24, 0x3f763a35
	v_accvgpr_read_b32 v1, a59
	v_accvgpr_read_b32 v6, a64
	;; [unrolled: 1-line block ×3, first 2 shown]
	s_mov_b32 s26, 0xbe8c1d8e
	v_pk_mul_f32 v[4:5], v[28:29], s[24:25] op_sel_hi:[1,0]
	v_pk_add_f32 v[18:19], v[0:1], v[6:7] neg_lo:[0,1] neg_hi:[0,1]
	v_pk_fma_f32 v[0:1], v[58:59], s[26:27], v[4:5] op_sel:[0,0,1] op_sel_hi:[1,0,0]
	v_accvgpr_read_b32 v2, a60
	v_accvgpr_write_b32 a103, v1
	v_accvgpr_write_b32 a102, v0
	v_pk_fma_f32 v[0:1], v[58:59], s[26:27], v[4:5] op_sel:[0,0,1] op_sel_hi:[1,0,0] neg_lo:[0,0,1] neg_hi:[0,0,1]
	v_accvgpr_read_b32 v3, a61
	v_accvgpr_write_b32 a105, v1
	v_accvgpr_write_b32 a104, v0
	v_accvgpr_read_b32 v0, a50
	v_accvgpr_read_b32 v4, a54
	;; [unrolled: 1-line block ×5, first 2 shown]
	v_pk_add_f32 v[14:15], v[2:3], v[4:5] neg_lo:[0,1] neg_hi:[0,1]
	v_pk_add_f32 v[4:5], v[92:93], v[52:53]
	v_accvgpr_read_b32 v1, a51
	v_accvgpr_read_b32 v6, a56
	;; [unrolled: 1-line block ×3, first 2 shown]
	v_pk_add_f32 v[4:5], v[4:5], v[54:55]
	s_mov_b32 s8, 0xbeb8f4ab
	v_pk_add_f32 v[16:17], v[0:1], v[6:7] neg_lo:[0,1] neg_hi:[0,1]
	s_mov_b32 s28, 0xbf06c442
	v_pk_add_f32 v[4:5], v[4:5], v[48:49]
	v_pk_add_f32 v[158:159], v[78:79], v[34:35]
	v_pk_add_f32 v[90:91], v[34:35], v[78:79] neg_lo:[0,1] neg_hi:[0,1]
	s_mov_b32 s9, 0x3f6eb680
	v_pk_mul_f32 v[0:1], v[16:17], s[28:29] op_sel:[1,0] op_sel_hi:[0,0]
	v_pk_add_f32 v[4:5], v[4:5], v[50:51]
	s_mov_b32 s38, s9
	s_mov_b32 s39, s8
	;; [unrolled: 1-line block ×3, first 2 shown]
	v_accvgpr_write_b32 a101, v1
	v_pk_add_f32 v[4:5], v[4:5], v[44:45]
	v_mov_b32_e32 v189, v159
	v_mov_b32_e32 v159, v90
	v_pk_add_f32 v[156:157], v[38:39], v[60:61]
	v_pk_add_f32 v[86:87], v[60:61], v[38:39] neg_lo:[0,1] neg_hi:[0,1]
	s_mov_b32 s15, 0x3f3d2fb0
	v_accvgpr_write_b32 a100, v0
	v_pk_add_f32 v[4:5], v[4:5], v[46:47]
	v_pk_mul_f32 v[0:1], v[158:159], s[38:39]
	s_mov_b32 s36, s15
	s_mov_b32 s37, s14
	;; [unrolled: 1-line block ×3, first 2 shown]
	v_pk_add_f32 v[4:5], v[4:5], v[40:41]
	v_mov_b32_e32 v188, v91
	v_accvgpr_write_b32 a155, v1
	v_mov_b32_e32 v41, v157
	v_mov_b32_e32 v157, v86
	v_pk_add_f32 v[154:155], v[36:37], v[62:63]
	v_pk_add_f32 v[84:85], v[62:63], v[36:37] neg_lo:[0,1] neg_hi:[0,1]
	s_mov_b32 s17, 0x3ee437d1
	v_pk_fma_f32 v[6:7], v[188:189], s[8:9], v[0:1] neg_lo:[1,0,0] neg_hi:[1,0,0]
	v_pk_fma_f32 v[74:75], v[188:189], s[8:9], v[0:1]
	v_accvgpr_write_b32 a154, v0
	v_pk_mul_f32 v[0:1], v[156:157], s[36:37]
	v_pk_add_f32 v[108:109], v[46:47], v[52:53]
	v_pk_add_f32 v[88:89], v[52:53], v[46:47] neg_lo:[0,1] neg_hi:[0,1]
	s_mov_b32 s10, 0xbf7ee86f
	s_mov_b32 s40, s17
	;; [unrolled: 1-line block ×3, first 2 shown]
	v_mov_b32_e32 v40, v87
	v_accvgpr_write_b32 a109, v1
	v_mov_b32_e32 v47, v155
	v_mov_b32_e32 v155, v84
	v_pk_add_f32 v[152:153], v[42:43], v[56:57]
	v_pk_add_f32 v[80:81], v[56:57], v[42:43] neg_lo:[0,1] neg_hi:[0,1]
	s_mov_b32 s11, 0x3dbcf732
	v_mov_b32_e32 v7, v75
	v_pk_fma_f32 v[34:35], v[40:41], s[14:15], v[0:1] neg_lo:[1,0,0] neg_hi:[1,0,0]
	v_pk_fma_f32 v[2:3], v[40:41], s[14:15], v[0:1]
	v_accvgpr_write_b32 a108, v0
	v_pk_mul_f32 v[0:1], v[154:155], s[40:41]
	s_mov_b32 s34, s11
	s_mov_b32 s35, s10
	v_pk_add_f32 v[6:7], v[32:33], v[6:7]
	v_mov_b32_e32 v35, v3
	v_mov_b32_e32 v46, v85
	v_accvgpr_write_b32 a113, v1
	v_mov_b32_e32 v53, v153
	v_mov_b32_e32 v153, v80
	s_mov_b32 s22, 0xbf763a35
	v_accvgpr_write_b32 a106, v2
	v_pk_add_f32 v[6:7], v[34:35], v[6:7]
	v_pk_fma_f32 v[34:35], v[46:47], s[16:17], v[0:1] neg_lo:[1,0,0] neg_hi:[1,0,0]
	v_pk_fma_f32 v[2:3], v[46:47], s[16:17], v[0:1]
	v_accvgpr_write_b32 a112, v0
	v_pk_mul_f32 v[0:1], v[152:153], s[34:35]
	s_mov_b32 s18, 0xbf4c4adb
	s_mov_b32 s27, s22
	v_mov_b32_e32 v35, v3
	v_mov_b32_e32 v52, v81
	v_accvgpr_write_b32 a117, v1
	v_mov_b32_e32 v81, v111
	v_mov_b32_e32 v111, v82
	s_mov_b32 s19, 0xbf1a4643
	v_accvgpr_write_b32 a110, v2
	v_pk_add_f32 v[6:7], v[34:35], v[6:7]
	v_pk_fma_f32 v[34:35], v[52:53], s[10:11], v[0:1] neg_lo:[1,0,0] neg_hi:[1,0,0]
	v_pk_fma_f32 v[2:3], v[52:53], s[10:11], v[0:1]
	v_accvgpr_write_b32 a116, v0
	v_pk_mul_f32 v[0:1], v[110:111], s[26:27]
	s_mov_b32 s30, s19
	s_mov_b32 s31, s18
	;; [unrolled: 1-line block ×3, first 2 shown]
	v_mov_b32_e32 v35, v3
	v_mov_b32_e32 v80, v83
	v_accvgpr_write_b32 a119, v1
	v_mov_b32_e32 v87, v109
	v_mov_b32_e32 v109, v88
	v_pk_add_f32 v[6:7], v[34:35], v[6:7]
	v_pk_fma_f32 v[34:35], v[80:81], s[22:23], v[0:1] neg_lo:[1,0,0] neg_hi:[1,0,0]
	v_pk_fma_f32 v[82:83], v[80:81], s[22:23], v[0:1]
	v_accvgpr_write_b32 a118, v0
	v_pk_mul_f32 v[0:1], v[108:109], s[30:31]
	v_mov_b32_e32 v35, v83
	v_mov_b32_e32 v86, v89
	v_accvgpr_write_b32 a121, v1
	v_pk_add_f32 v[6:7], v[34:35], v[6:7]
	v_pk_fma_f32 v[34:35], v[86:87], s[18:19], v[0:1] neg_lo:[1,0,0] neg_hi:[1,0,0]
	v_pk_fma_f32 v[88:89], v[86:87], s[18:19], v[0:1]
	v_accvgpr_write_b32 a120, v0
	v_pk_mul_f32 v[0:1], v[14:15], s[28:29] op_sel:[1,0] op_sel_hi:[0,0]
	v_pk_mul_f32 v[12:13], v[18:19], s[28:29] op_sel:[1,0] op_sel_hi:[0,0]
	v_accvgpr_write_b32 a135, v1
	v_accvgpr_write_b32 a95, v13
	;; [unrolled: 1-line block ×3, first 2 shown]
	v_pk_mul_f32 v[0:1], v[28:29], s[28:29] op_sel_hi:[1,0]
	s_mov_b32 s20, 0x3f06c442
	v_accvgpr_write_b32 a94, v12
	v_pk_add_f32 v[12:13], v[8:9], v[10:11] neg_lo:[0,1] neg_hi:[0,1]
	v_accvgpr_write_b32 a131, v1
	v_pk_add_f32 v[106:107], v[44:45], v[54:55]
	v_pk_add_f32 v[94:95], v[54:55], v[44:45] neg_lo:[0,1] neg_hi:[0,1]
	s_mov_b32 s21, 0xbf59a7d5
	v_accvgpr_write_b32 a130, v0
	v_pk_mul_f32 v[0:1], v[12:13], s[28:29] op_sel:[1,0] op_sel_hi:[0,0]
	v_mov_b32_e32 v93, v107
	v_mov_b32_e32 v107, v94
	v_accvgpr_write_b32 a129, v1
	s_mov_b32 s46, s21
	s_mov_b32 s47, s28
	v_mov_b32_e32 v35, v89
	v_mov_b32_e32 v92, v95
	v_accvgpr_write_b32 a128, v0
	s_mov_b32 s29, s21
	v_pk_mul_f32 v[0:1], v[106:107], s[46:47]
	v_pk_add_f32 v[6:7], v[34:35], v[6:7]
	v_pk_fma_f32 v[34:35], v[92:93], s[28:29], v[0:1] neg_lo:[1,0,0] neg_hi:[1,0,0]
	v_pk_fma_f32 v[94:95], v[92:93], s[28:29], v[0:1]
	s_mov_b32 s62, 0x3e3c28d5
	v_mov_b32_e32 v35, v95
	v_accvgpr_write_b32 a123, v1
	v_pk_add_f32 v[6:7], v[34:35], v[6:7]
	s_mov_b32 s44, 0xbf7ba420
	v_pk_mul_f32 v[34:35], v[28:29], s[62:63] op_sel_hi:[1,0]
	v_accvgpr_write_b32 a122, v0
	v_pk_fma_f32 v[0:1], v[58:59], s[44:45], v[34:35] op_sel:[0,0,1] op_sel_hi:[1,0,0]
	v_pk_add_f32 v[104:105], v[50:51], v[48:49]
	v_accvgpr_write_b32 a159, v1
	v_pk_add_f32 v[100:101], v[48:49], v[50:51] neg_lo:[0,1] neg_hi:[0,1]
	v_accvgpr_write_b32 a158, v0
	v_pk_fma_f32 v[0:1], v[58:59], s[44:45], v[34:35] op_sel:[0,0,1] op_sel_hi:[1,0,0] neg_lo:[0,0,1] neg_hi:[0,0,1]
	s_mov_b32 s42, 0xbe3c28d5
	v_mov_b32_e32 v99, v105
	v_mov_b32_e32 v105, v100
	v_accvgpr_write_b32 a157, v1
	s_mov_b32 s45, s42
	v_accvgpr_write_b32 a156, v0
	v_pk_mul_f32 v[0:1], v[104:105], s[44:45]
	v_pk_add_f32 v[4:5], v[4:5], v[42:43]
	v_accvgpr_write_b32 a114, v2
	v_mov_b32_e32 v98, v101
	s_mov_b32 s43, s44
	v_accvgpr_write_b32 a125, v1
	v_accvgpr_read_b32 v2, a20
	v_pk_add_f32 v[4:5], v[4:5], v[36:37]
	v_pk_fma_f32 v[34:35], v[98:99], s[42:43], v[0:1] neg_lo:[1,0,0] neg_hi:[1,0,0]
	v_pk_fma_f32 v[100:101], v[98:99], s[42:43], v[0:1]
	v_accvgpr_write_b32 a124, v0
	v_mul_lo_u16_e32 v0, 17, v2
	v_pk_add_f32 v[4:5], v[4:5], v[38:39]
	v_mov_b32_e32 v35, v101
	v_lshl_add_u32 v54, v0, 3, v96
	v_pk_mul_f32 v[0:1], v[158:159], s[36:37]
	v_pk_add_f32 v[4:5], v[4:5], v[78:79]
	v_pk_add_f32 v[6:7], v[34:35], v[6:7]
	v_accvgpr_write_b32 a175, v1
	s_waitcnt lgkmcnt(0)
	; wave barrier
	ds_write2_b64 v54, v[4:5], v[6:7] offset1:1
	v_pk_fma_f32 v[4:5], v[188:189], s[14:15], v[0:1] neg_lo:[1,0,0] neg_hi:[1,0,0]
	v_pk_fma_f32 v[118:119], v[188:189], s[14:15], v[0:1]
	v_accvgpr_write_b32 a174, v0
	v_pk_mul_f32 v[0:1], v[156:157], s[34:35]
	v_mov_b32_e32 v5, v119
	v_accvgpr_write_b32 a177, v1
	v_pk_fma_f32 v[6:7], v[40:41], s[10:11], v[0:1] neg_lo:[1,0,0] neg_hi:[1,0,0]
	v_pk_fma_f32 v[122:123], v[40:41], s[10:11], v[0:1]
	v_accvgpr_write_b32 a176, v0
	v_pk_mul_f32 v[0:1], v[154:155], s[30:31]
	v_pk_add_f32 v[4:5], v[32:33], v[4:5]
	v_mov_b32_e32 v7, v123
	v_accvgpr_write_b32 a179, v1
	v_pk_add_f32 v[4:5], v[6:7], v[4:5]
	v_pk_fma_f32 v[6:7], v[46:47], s[18:19], v[0:1] neg_lo:[1,0,0] neg_hi:[1,0,0]
	v_pk_fma_f32 v[126:127], v[46:47], s[18:19], v[0:1]
	v_accvgpr_write_b32 a178, v0
	v_pk_mul_f32 v[0:1], v[152:153], s[44:45]
	v_mov_b32_e32 v7, v127
	v_accvgpr_write_b32 a181, v1
	s_mov_b32 s60, s21
	s_mov_b32 s61, s20
	v_pk_add_f32 v[4:5], v[6:7], v[4:5]
	v_pk_fma_f32 v[6:7], v[52:53], s[42:43], v[0:1] neg_lo:[1,0,0] neg_hi:[1,0,0]
	v_pk_fma_f32 v[132:133], v[52:53], s[42:43], v[0:1]
	v_accvgpr_write_b32 a180, v0
	v_pk_mul_f32 v[0:1], v[110:111], s[60:61]
	v_mov_b32_e32 v7, v133
	v_accvgpr_write_b32 a183, v1
	s_mov_b32 s58, s26
	s_mov_b32 s59, s24
	v_pk_add_f32 v[4:5], v[6:7], v[4:5]
	v_pk_fma_f32 v[6:7], v[80:81], s[20:21], v[0:1] neg_lo:[1,0,0] neg_hi:[1,0,0]
	v_pk_fma_f32 v[134:135], v[80:81], s[20:21], v[0:1]
	v_accvgpr_write_b32 a182, v0
	v_pk_mul_f32 v[0:1], v[108:109], s[58:59]
	v_mov_b32_e32 v7, v135
	s_mov_b32 s25, s26
	v_accvgpr_write_b32 a187, v1
	s_mov_b32 s48, 0x3f65296c
	v_pk_add_f32 v[4:5], v[6:7], v[4:5]
	v_pk_fma_f32 v[6:7], v[86:87], s[24:25], v[0:1] neg_lo:[1,0,0] neg_hi:[1,0,0]
	v_pk_fma_f32 v[140:141], v[86:87], s[24:25], v[0:1]
	v_accvgpr_write_b32 a186, v0
	v_pk_mul_f32 v[0:1], v[14:15], s[48:49] op_sel:[1,0] op_sel_hi:[0,0]
	v_accvgpr_write_b32 a143, v1
	v_accvgpr_write_b32 a142, v0
	v_pk_mul_f32 v[0:1], v[16:17], s[48:49] op_sel:[1,0] op_sel_hi:[0,0]
	v_accvgpr_write_b32 a139, v1
	;; [unrolled: 3-line block ×3, first 2 shown]
	s_mov_b32 s50, s17
	s_mov_b32 s51, s48
	v_accvgpr_write_b32 a132, v0
	v_pk_mul_f32 v[0:1], v[106:107], s[50:51]
	v_mov_b32_e32 v7, v141
	s_mov_b32 s49, s17
	v_accvgpr_write_b32 a189, v1
	s_mov_b32 s52, 0x3eb8f4ab
	v_pk_add_f32 v[4:5], v[6:7], v[4:5]
	v_pk_fma_f32 v[6:7], v[92:93], s[48:49], v[0:1] neg_lo:[1,0,0] neg_hi:[1,0,0]
	v_pk_fma_f32 v[146:147], v[92:93], s[48:49], v[0:1]
	v_accvgpr_write_b32 a188, v0
	v_pk_mul_f32 v[0:1], v[18:19], s[52:53] op_sel:[1,0] op_sel_hi:[0,0]
	s_mov_b32 s54, s9
	s_mov_b32 s55, s52
	v_mov_b32_e32 v7, v147
	v_accvgpr_write_b32 a167, v1
	s_mov_b32 s53, s9
	v_pk_mul_f32 v[194:195], v[104:105], s[54:55]
	v_pk_add_f32 v[4:5], v[6:7], v[4:5]
	v_accvgpr_write_b32 a166, v0
	v_pk_fma_f32 v[6:7], v[98:99], s[52:53], v[194:195] neg_lo:[1,0,0] neg_hi:[1,0,0]
	v_pk_fma_f32 v[150:151], v[98:99], s[52:53], v[194:195]
	v_pk_mul_f32 v[0:1], v[158:159], s[40:41]
	v_accvgpr_read_b32 v20, a62
	v_accvgpr_read_b32 v24, a58
	v_mov_b32_e32 v7, v151
	v_accvgpr_write_b32 a191, v1
	s_mov_b32 s64, 0x3f2c7751
	v_accvgpr_read_b32 v21, a63
	v_accvgpr_read_b32 v26, a60
	v_accvgpr_read_b32 v27, a61
	v_pk_add_f32 v[4:5], v[6:7], v[4:5]
	v_pk_fma_f32 v[6:7], v[188:189], s[16:17], v[0:1] neg_lo:[1,0,0] neg_hi:[1,0,0]
	v_pk_fma_f32 v[202:203], v[188:189], s[16:17], v[0:1]
	v_accvgpr_write_b32 a190, v0
	v_pk_mul_f32 v[0:1], v[28:29], s[64:65] op_sel_hi:[1,0]
	v_pk_add_f32 v[48:49], v[26:27], v[20:21] neg_lo:[0,1] neg_hi:[0,1]
	v_accvgpr_write_b32 a171, v1
	v_pk_mul_f32 v[148:149], v[156:157], s[30:31]
	v_accvgpr_write_b32 a170, v0
	v_pk_mul_f32 v[0:1], v[48:49], s[64:65] op_sel:[1,0] op_sel_hi:[0,0]
	v_mov_b32_e32 v7, v203
	v_pk_fma_f32 v[34:35], v[40:41], s[18:19], v[148:149] neg_lo:[1,0,0] neg_hi:[1,0,0]
	v_pk_fma_f32 v[206:207], v[40:41], s[18:19], v[148:149]
	s_mov_b32 s56, s44
	s_mov_b32 s57, s62
	v_accvgpr_write_b32 a163, v1
	v_pk_add_f32 v[6:7], v[32:33], v[6:7]
	v_mov_b32_e32 v35, v207
	s_mov_b32 s63, s44
	v_pk_mul_f32 v[142:143], v[154:155], s[56:57]
	v_accvgpr_write_b32 a162, v0
	v_pk_mul_f32 v[0:1], v[18:19], s[64:65] op_sel:[1,0] op_sel_hi:[0,0]
	v_pk_add_f32 v[6:7], v[34:35], v[6:7]
	v_pk_fma_f32 v[34:35], v[46:47], s[62:63], v[142:143] neg_lo:[1,0,0] neg_hi:[1,0,0]
	v_pk_fma_f32 v[210:211], v[46:47], s[62:63], v[142:143]
	v_accvgpr_write_b32 a147, v1
	v_mov_b32_e32 v35, v211
	v_pk_mul_f32 v[216:217], v[152:153], s[58:59]
	v_accvgpr_write_b32 a146, v0
	v_pk_mul_f32 v[0:1], v[12:13], s[64:65] op_sel:[1,0] op_sel_hi:[0,0]
	v_pk_add_f32 v[6:7], v[34:35], v[6:7]
	v_pk_fma_f32 v[34:35], v[52:53], s[24:25], v[216:217] neg_lo:[1,0,0] neg_hi:[1,0,0]
	v_pk_fma_f32 v[214:215], v[52:53], s[24:25], v[216:217]
	v_accvgpr_write_b32 a141, v1
	s_mov_b32 s70, s15
	s_mov_b32 s71, s64
	v_mov_b32_e32 v35, v215
	v_accvgpr_write_b32 a140, v0
	v_pk_mul_f32 v[0:1], v[14:15], s[64:65] op_sel:[1,0] op_sel_hi:[0,0]
	s_mov_b32 s65, s15
	v_pk_mul_f32 v[120:121], v[110:111], s[70:71]
	v_pk_add_f32 v[6:7], v[34:35], v[6:7]
	v_pk_fma_f32 v[34:35], v[80:81], s[64:65], v[120:121] neg_lo:[1,0,0] neg_hi:[1,0,0]
	v_pk_fma_f32 v[218:219], v[80:81], s[64:65], v[120:121]
	v_pk_mul_f32 v[116:117], v[108:109], s[38:39]
	v_mov_b32_e32 v35, v219
	v_pk_add_f32 v[6:7], v[34:35], v[6:7]
	v_pk_fma_f32 v[34:35], v[86:87], s[8:9], v[116:117] neg_lo:[1,0,0] neg_hi:[1,0,0]
	v_pk_fma_f32 v[222:223], v[86:87], s[8:9], v[116:117]
	v_pk_mul_f32 v[114:115], v[106:107], s[34:35]
	v_mov_b32_e32 v35, v223
	;; [unrolled: 5-line block ×3, first 2 shown]
	v_pk_add_f32 v[6:7], v[34:35], v[6:7]
	v_pk_fma_f32 v[34:35], v[98:99], s[28:29], v[102:103] neg_lo:[1,0,0] neg_hi:[1,0,0]
	v_pk_fma_f32 v[230:231], v[98:99], s[28:29], v[102:103]
	v_accvgpr_read_b32 v3, a21
	v_mov_b32_e32 v35, v231
	v_pk_add_f32 v[6:7], v[34:35], v[6:7]
	v_pk_mul_f32 v[2:3], v[158:159], s[34:35]
	ds_write2_b64 v54, v[4:5], v[6:7] offset0:2 offset1:3
	v_pk_fma_f32 v[4:5], v[188:189], s[10:11], v[2:3] neg_lo:[1,0,0] neg_hi:[1,0,0]
	v_pk_fma_f32 v[234:235], v[188:189], s[10:11], v[2:3]
	v_pk_mul_f32 v[76:77], v[156:157], s[44:45]
	v_mov_b32_e32 v5, v235
	v_pk_fma_f32 v[6:7], v[40:41], s[42:43], v[76:77] neg_lo:[1,0,0] neg_hi:[1,0,0]
	v_pk_fma_f32 v[240:241], v[40:41], s[42:43], v[76:77]
	v_pk_add_f32 v[4:5], v[32:33], v[4:5]
	v_mov_b32_e32 v7, v241
	v_pk_mul_f32 v[66:67], v[154:155], s[58:59]
	v_pk_add_f32 v[4:5], v[6:7], v[4:5]
	v_pk_fma_f32 v[6:7], v[46:47], s[24:25], v[66:67] neg_lo:[1,0,0] neg_hi:[1,0,0]
	v_pk_fma_f32 v[244:245], v[46:47], s[24:25], v[66:67]
	v_pk_mul_f32 v[250:251], v[152:153], s[54:55]
	v_mov_b32_e32 v7, v245
	v_pk_add_f32 v[4:5], v[6:7], v[4:5]
	v_pk_fma_f32 v[6:7], v[52:53], s[52:53], v[250:251] neg_lo:[1,0,0] neg_hi:[1,0,0]
	v_pk_fma_f32 v[248:249], v[52:53], s[52:53], v[250:251]
	v_pk_mul_f32 v[254:255], v[110:111], s[40:41]
	v_mov_b32_e32 v7, v249
	v_accvgpr_write_b32 a137, v1
	v_pk_add_f32 v[4:5], v[6:7], v[4:5]
	v_pk_fma_f32 v[6:7], v[80:81], s[16:17], v[254:255] neg_lo:[1,0,0] neg_hi:[1,0,0]
	v_pk_fma_f32 v[252:253], v[80:81], s[16:17], v[254:255]
	s_mov_b32 s66, 0x3f4c4adb
	v_accvgpr_write_b32 a136, v0
	v_mov_b32_e32 v7, v253
	v_pk_mul_f32 v[62:63], v[108:109], s[46:47]
	v_pk_mul_f32 v[0:1], v[14:15], s[66:67] op_sel:[1,0] op_sel_hi:[0,0]
	v_pk_add_f32 v[4:5], v[6:7], v[4:5]
	v_pk_fma_f32 v[6:7], v[86:87], s[28:29], v[62:63] neg_lo:[1,0,0] neg_hi:[1,0,0]
	v_pk_fma_f32 v[56:57], v[86:87], s[28:29], v[62:63]
	v_accvgpr_write_b32 a165, v1
	s_mov_b32 s74, s19
	s_mov_b32 s75, s66
	v_mov_b32_e32 v7, v57
	v_accvgpr_write_b32 a164, v0
	v_pk_mul_f32 v[0:1], v[18:19], s[66:67] op_sel:[1,0] op_sel_hi:[0,0]
	s_mov_b32 s67, s19
	v_pk_mul_f32 v[160:161], v[106:107], s[74:75]
	v_pk_add_f32 v[4:5], v[6:7], v[4:5]
	v_pk_fma_f32 v[6:7], v[92:93], s[66:67], v[160:161] neg_lo:[1,0,0] neg_hi:[1,0,0]
	v_pk_fma_f32 v[68:69], v[92:93], s[66:67], v[160:161]
	v_pk_mul_f32 v[60:61], v[104:105], s[70:71]
	v_mov_b32_e32 v7, v69
	v_pk_add_f32 v[34:35], v[6:7], v[4:5]
	v_pk_fma_f32 v[44:45], v[98:99], s[64:65], v[60:61] neg_lo:[1,0,0] neg_hi:[1,0,0]
	v_pk_fma_f32 v[4:5], v[98:99], s[64:65], v[60:61]
	v_pk_mul_f32 v[162:163], v[158:159], s[26:27]
	v_mov_b32_e32 v45, v5
	;; [unrolled: 5-line block ×3, first 2 shown]
	v_pk_fma_f32 v[44:45], v[40:41], s[20:21], v[166:167] neg_lo:[1,0,0] neg_hi:[1,0,0]
	v_pk_fma_f32 v[164:165], v[40:41], s[20:21], v[166:167]
	v_pk_mul_f32 v[42:43], v[154:155], s[70:71]
	v_pk_add_f32 v[34:35], v[32:33], v[34:35]
	v_mov_b32_e32 v45, v165
	v_pk_fma_f32 v[50:51], v[46:47], s[64:65], v[42:43] neg_lo:[1,0,0] neg_hi:[1,0,0]
	v_pk_fma_f32 v[168:169], v[46:47], s[64:65], v[42:43]
	v_pk_add_f32 v[44:45], v[44:45], v[34:35]
	v_mov_b32_e32 v51, v169
	v_pk_mul_f32 v[38:39], v[152:153], s[40:41]
	v_pk_add_f32 v[44:45], v[50:51], v[44:45]
	v_pk_fma_f32 v[50:51], v[52:53], s[16:17], v[38:39] neg_lo:[1,0,0] neg_hi:[1,0,0]
	v_pk_fma_f32 v[172:173], v[52:53], s[16:17], v[38:39]
	v_accvgpr_mov_b32 a127, a21
	v_mov_b32_e32 v51, v173
	v_pk_mul_f32 v[34:35], v[110:111], s[44:45]
	v_accvgpr_mov_b32 a126, a20
	v_pk_add_f32 v[44:45], v[50:51], v[44:45]
	v_pk_fma_f32 v[50:51], v[80:81], s[42:43], v[34:35] neg_lo:[1,0,0] neg_hi:[1,0,0]
	v_accvgpr_write_b32 a21, v96
	v_pk_fma_f32 v[96:97], v[80:81], s[42:43], v[34:35]
	s_mov_b32 s56, s11
	v_mov_b32_e32 v51, v97
	v_pk_add_f32 v[184:185], v[10:11], v[8:9]
	v_accvgpr_write_b32 a149, v1
	v_pk_add_f32 v[44:45], v[50:51], v[44:45]
	s_mov_b32 s68, 0x3f7ee86f
	v_pk_mul_f32 v[50:51], v[184:185], s[56:57] op_sel_hi:[1,0]
	v_accvgpr_write_b32 a148, v0
	v_pk_fma_f32 v[0:1], v[12:13], s[68:69], v[50:51] op_sel:[1,0,0] op_sel_hi:[0,0,1] neg_lo:[1,0,0] neg_hi:[1,0,0]
	v_accvgpr_write_b32 a145, v1
	v_accvgpr_write_b32 a144, v0
	v_pk_mul_f32 v[0:1], v[48:49], s[68:69] op_sel:[1,0] op_sel_hi:[0,0]
	v_accvgpr_write_b32 a185, v1
	s_mov_b32 s72, s11
	s_mov_b32 s73, s68
	v_pk_fma_f32 v[6:7], v[12:13], s[68:69], v[50:51] op_sel:[1,0,0] op_sel_hi:[0,0,1]
	v_accvgpr_write_b32 a184, v0
	v_pk_mul_f32 v[0:1], v[16:17], s[68:69] op_sel:[1,0] op_sel_hi:[0,0]
	s_mov_b32 s69, s11
	v_pk_mul_f32 v[78:79], v[108:109], s[72:73]
	v_accvgpr_write_b32 a49, v11
	v_pk_fma_f32 v[84:85], v[86:87], s[68:69], v[78:79] neg_lo:[1,0,0] neg_hi:[1,0,0]
	v_pk_fma_f32 v[50:51], v[86:87], s[68:69], v[78:79]
	v_pk_mul_f32 v[186:187], v[104:105], s[30:31]
	v_mov_b32_e32 v85, v51
	v_pk_add_f32 v[90:91], v[84:85], v[44:45]
	v_pk_mul_f32 v[84:85], v[106:107], s[38:39]
	v_accvgpr_write_b32 a48, v10
	v_pk_fma_f32 v[128:129], v[92:93], s[8:9], v[84:85] neg_lo:[1,0,0] neg_hi:[1,0,0]
	v_pk_fma_f32 v[44:45], v[92:93], s[8:9], v[84:85]
	v_accvgpr_write_b32 a47, v9
	v_mov_b32_e32 v129, v45
	v_accvgpr_write_b32 a46, v8
	v_pk_add_f32 v[128:129], v[128:129], v[90:91]
	v_pk_fma_f32 v[90:91], v[98:99], s[18:19], v[186:187] neg_lo:[1,0,0] neg_hi:[1,0,0]
	v_pk_fma_f32 v[8:9], v[98:99], s[18:19], v[186:187]
	v_accvgpr_write_b32 a153, v15
	v_mov_b32_e32 v91, v9
	v_pk_add_f32 v[10:11], v[90:91], v[128:129]
	ds_write2_b64 v54, v[112:113], v[10:11] offset0:4 offset1:5
	v_pk_mul_f32 v[10:11], v[158:159], s[30:31]
	v_accvgpr_write_b32 a151, v13
	v_pk_fma_f32 v[90:91], v[188:189], s[18:19], v[10:11] neg_lo:[1,0,0] neg_hi:[1,0,0]
	v_pk_fma_f32 v[112:113], v[188:189], s[18:19], v[10:11]
	v_pk_mul_f32 v[128:129], v[156:157], s[58:59]
	v_accvgpr_write_b32 a152, v14
	v_accvgpr_write_b32 a150, v12
	v_mov_b32_e32 v91, v113
	v_pk_fma_f32 v[12:13], v[40:41], s[24:25], v[128:129] neg_lo:[1,0,0] neg_hi:[1,0,0]
	v_pk_fma_f32 v[14:15], v[40:41], s[24:25], v[128:129]
	v_pk_add_f32 v[90:91], v[32:33], v[90:91]
	v_mov_b32_e32 v13, v15
	v_accvgpr_write_b32 a169, v19
	v_accvgpr_write_b32 a85, v17
	v_pk_add_f32 v[12:13], v[12:13], v[90:91]
	v_pk_mul_f32 v[90:91], v[154:155], s[38:39]
	v_accvgpr_write_b32 a168, v18
	v_accvgpr_write_b32 a84, v16
	v_pk_fma_f32 v[16:17], v[46:47], s[8:9], v[90:91] neg_lo:[1,0,0] neg_hi:[1,0,0]
	v_pk_fma_f32 v[18:19], v[46:47], s[8:9], v[90:91]
	v_accvgpr_read_b32 v22, a64
	v_mov_b32_e32 v17, v19
	v_accvgpr_read_b32 v23, a65
	v_pk_add_f32 v[12:13], v[16:17], v[12:13]
	v_pk_mul_f32 v[16:17], v[152:153], s[46:47]
	v_accvgpr_read_b32 v25, a59
	v_pk_fma_f32 v[20:21], v[52:53], s[28:29], v[16:17] neg_lo:[1,0,0] neg_hi:[1,0,0]
	v_pk_fma_f32 v[22:23], v[52:53], s[28:29], v[16:17]
	v_accvgpr_write_b32 a161, v29
	v_mov_b32_e32 v21, v23
	v_pk_add_f32 v[12:13], v[20:21], v[12:13]
	v_pk_mul_f32 v[20:21], v[110:111], s[72:73]
	v_accvgpr_write_b32 a160, v28
	v_pk_fma_f32 v[24:25], v[80:81], s[68:69], v[20:21] neg_lo:[1,0,0] neg_hi:[1,0,0]
	v_pk_fma_f32 v[26:27], v[80:81], s[68:69], v[20:21]
	v_pk_mul_f32 v[238:239], v[156:157], s[50:51]
	v_mov_b32_e32 v25, v27
	v_pk_add_f32 v[12:13], v[24:25], v[12:13]
	v_pk_mul_f32 v[24:25], v[108:109], s[36:37]
	v_pk_fma_f32 v[136:137], v[40:41], s[48:49], v[238:239] neg_lo:[1,0,0] neg_hi:[1,0,0]
	v_pk_fma_f32 v[28:29], v[86:87], s[14:15], v[24:25] neg_lo:[1,0,0] neg_hi:[1,0,0]
	v_pk_fma_f32 v[30:31], v[86:87], s[14:15], v[24:25]
	v_pk_fma_f32 v[204:205], v[40:41], s[48:49], v[238:239]
	v_mov_b32_e32 v29, v31
	v_pk_add_f32 v[12:13], v[28:29], v[12:13]
	v_pk_mul_f32 v[28:29], v[106:107], s[44:45]
	v_mov_b32_e32 v137, v205
	v_pk_fma_f32 v[36:37], v[92:93], s[42:43], v[28:29] neg_lo:[1,0,0] neg_hi:[1,0,0]
	v_pk_fma_f32 v[64:65], v[92:93], s[42:43], v[28:29]
	v_pk_mul_f32 v[156:157], v[156:157], s[54:55]
	v_mov_b32_e32 v37, v65
	v_pk_add_f32 v[12:13], v[36:37], v[12:13]
	v_pk_mul_f32 v[36:37], v[104:105], s[50:51]
	v_pk_fma_f32 v[182:183], v[40:41], s[52:53], v[156:157]
	v_pk_fma_f32 v[198:199], v[98:99], s[48:49], v[36:37] neg_lo:[1,0,0] neg_hi:[1,0,0]
	v_pk_fma_f32 v[138:139], v[98:99], s[48:49], v[36:37]
	v_accvgpr_write_b32 a173, v1
	v_mov_b32_e32 v199, v139
	v_pk_add_f32 v[12:13], v[198:199], v[12:13]
	v_pk_mul_f32 v[198:199], v[158:159], s[46:47]
	v_accvgpr_write_b32 a172, v0
	v_pk_fma_f32 v[144:145], v[188:189], s[28:29], v[198:199] neg_lo:[1,0,0] neg_hi:[1,0,0]
	v_pk_fma_f32 v[200:201], v[188:189], s[28:29], v[198:199]
	v_pk_fma_f32 v[10:11], v[188:189], s[18:19], v[10:11] neg_lo:[0,0,1] neg_hi:[0,0,1]
	v_mov_b32_e32 v145, v201
	v_pk_add_f32 v[144:145], v[32:33], v[144:145]
	v_mov_b32_e32 v113, v11
	v_pk_add_f32 v[136:137], v[136:137], v[144:145]
	v_pk_mul_f32 v[144:145], v[154:155], s[34:35]
	v_pk_mul_f32 v[154:155], v[154:155], s[46:47]
	v_pk_fma_f32 v[208:209], v[46:47], s[10:11], v[144:145] neg_lo:[1,0,0] neg_hi:[1,0,0]
	v_pk_fma_f32 v[212:213], v[46:47], s[10:11], v[144:145]
	v_pk_fma_f32 v[178:179], v[46:47], s[28:29], v[154:155]
	v_mov_b32_e32 v209, v213
	v_pk_add_f32 v[136:137], v[208:209], v[136:137]
	v_pk_mul_f32 v[208:209], v[152:153], s[74:75]
	v_pk_mul_f32 v[152:153], v[152:153], s[70:71]
	v_pk_fma_f32 v[224:225], v[52:53], s[66:67], v[208:209] neg_lo:[1,0,0] neg_hi:[1,0,0]
	v_pk_fma_f32 v[228:229], v[52:53], s[66:67], v[208:209]
	v_pk_fma_f32 v[180:181], v[52:53], s[64:65], v[152:153]
	;; [unrolled: 7-line block ×6, first 2 shown]
	v_mov_b32_e32 v247, v171
	v_pk_add_f32 v[136:137], v[246:247], v[136:137]
	ds_write2_b64 v54, v[12:13], v[136:137] offset0:6 offset1:7
	v_pk_mul_f32 v[12:13], v[158:159], s[44:45]
	v_pk_fma_f32 v[246:247], v[40:41], s[52:53], v[156:157] neg_lo:[1,0,0] neg_hi:[1,0,0]
	v_pk_fma_f32 v[136:137], v[188:189], s[42:43], v[12:13] neg_lo:[1,0,0] neg_hi:[1,0,0]
	v_pk_fma_f32 v[158:159], v[188:189], s[42:43], v[12:13]
	v_mov_b32_e32 v247, v183
	v_mov_b32_e32 v137, v159
	v_pk_add_f32 v[136:137], v[32:33], v[136:137]
	v_pk_fma_f32 v[12:13], v[188:189], s[42:43], v[12:13] neg_lo:[0,0,1] neg_hi:[0,0,1]
	v_pk_add_f32 v[136:137], v[246:247], v[136:137]
	v_pk_fma_f32 v[246:247], v[46:47], s[28:29], v[154:155] neg_lo:[1,0,0] neg_hi:[1,0,0]
	v_mov_b32_e32 v159, v13
	v_mov_b32_e32 v247, v179
	v_pk_add_f32 v[136:137], v[246:247], v[136:137]
	v_pk_fma_f32 v[246:247], v[52:53], s[64:65], v[152:153] neg_lo:[1,0,0] neg_hi:[1,0,0]
	v_pk_fma_f32 v[12:13], v[40:41], s[52:53], v[156:157] neg_lo:[0,0,1] neg_hi:[0,0,1]
	v_mov_b32_e32 v247, v181
	v_pk_add_f32 v[136:137], v[246:247], v[136:137]
	v_pk_fma_f32 v[246:247], v[80:81], s[18:19], v[110:111] neg_lo:[1,0,0] neg_hi:[1,0,0]
	v_mov_b32_e32 v183, v13
	v_pk_add_f32 v[12:13], v[32:33], v[158:159]
	;; [unrolled: 3-line block ×3, first 2 shown]
	v_mov_b32_e32 v179, v155
	v_pk_fma_f32 v[152:153], v[52:53], s[64:65], v[152:153] neg_lo:[0,0,1] neg_hi:[0,0,1]
	v_pk_add_f32 v[136:137], v[246:247], v[136:137]
	v_pk_fma_f32 v[246:247], v[86:87], s[48:49], v[108:109] neg_lo:[1,0,0] neg_hi:[1,0,0]
	v_pk_add_f32 v[12:13], v[178:179], v[12:13]
	v_mov_b32_e32 v181, v153
	v_pk_fma_f32 v[110:111], v[80:81], s[18:19], v[110:111] neg_lo:[0,0,1] neg_hi:[0,0,1]
	v_mov_b32_e32 v247, v1
	v_pk_add_f32 v[12:13], v[180:181], v[12:13]
	v_mov_b32_e32 v131, v111
	v_pk_fma_f32 v[108:109], v[86:87], s[48:49], v[108:109] neg_lo:[0,0,1] neg_hi:[0,0,1]
	v_pk_add_f32 v[136:137], v[246:247], v[136:137]
	v_pk_fma_f32 v[246:247], v[92:93], s[22:23], v[106:107] neg_lo:[1,0,0] neg_hi:[1,0,0]
	v_pk_add_f32 v[12:13], v[130:131], v[12:13]
	v_mov_b32_e32 v1, v109
	v_mov_b32_e32 v247, v71
	v_pk_add_f32 v[0:1], v[0:1], v[12:13]
	v_pk_fma_f32 v[12:13], v[92:93], s[22:23], v[106:107] neg_lo:[0,0,1] neg_hi:[0,0,1]
	v_pk_add_f32 v[136:137], v[246:247], v[136:137]
	v_pk_fma_f32 v[246:247], v[98:99], s[68:69], v[104:105] neg_lo:[1,0,0] neg_hi:[1,0,0]
	v_mov_b32_e32 v71, v13
	v_pk_fma_f32 v[12:13], v[98:99], s[68:69], v[104:105] neg_lo:[0,0,1] neg_hi:[0,0,1]
	v_mov_b32_e32 v247, v73
	v_mov_b32_e32 v73, v13
	v_pk_fma_f32 v[12:13], v[46:47], s[10:11], v[144:145] neg_lo:[0,0,1] neg_hi:[0,0,1]
	v_pk_add_f32 v[0:1], v[70:71], v[0:1]
	v_mov_b32_e32 v213, v13
	v_pk_fma_f32 v[12:13], v[52:53], s[66:67], v[208:209] neg_lo:[0,0,1] neg_hi:[0,0,1]
	v_pk_add_f32 v[136:137], v[246:247], v[136:137]
	;; [unrolled: 3-line block ×3, first 2 shown]
	v_mov_b32_e32 v177, v13
	v_pk_fma_f32 v[12:13], v[86:87], s[42:43], v[232:233] neg_lo:[0,0,1] neg_hi:[0,0,1]
	ds_write2_b64 v54, v[136:137], v[0:1] offset0:8 offset1:9
	v_pk_fma_f32 v[0:1], v[188:189], s[28:29], v[198:199] neg_lo:[0,0,1] neg_hi:[0,0,1]
	v_mov_b32_e32 v125, v13
	v_pk_fma_f32 v[12:13], v[92:93], s[64:65], v[220:221] neg_lo:[0,0,1] neg_hi:[0,0,1]
	v_mov_b32_e32 v201, v1
	;; [unrolled: 2-line block ×3, first 2 shown]
	v_pk_fma_f32 v[12:13], v[98:99], s[22:23], v[236:237] neg_lo:[0,0,1] neg_hi:[0,0,1]
	v_pk_fma_f32 v[10:11], v[40:41], s[24:25], v[128:129] neg_lo:[0,0,1] neg_hi:[0,0,1]
	v_mov_b32_e32 v205, v1
	v_pk_add_f32 v[0:1], v[32:33], v[200:201]
	v_mov_b32_e32 v171, v13
	v_mov_b32_e32 v15, v11
	v_pk_add_f32 v[10:11], v[32:33], v[112:113]
	v_pk_fma_f32 v[12:13], v[46:47], s[8:9], v[90:91] neg_lo:[0,0,1] neg_hi:[0,0,1]
	v_pk_add_f32 v[0:1], v[204:205], v[0:1]
	v_pk_add_f32 v[10:11], v[14:15], v[10:11]
	v_mov_b32_e32 v19, v13
	v_pk_fma_f32 v[12:13], v[52:53], s[28:29], v[16:17] neg_lo:[0,0,1] neg_hi:[0,0,1]
	v_pk_add_f32 v[0:1], v[212:213], v[0:1]
	v_pk_add_f32 v[10:11], v[18:19], v[10:11]
	v_mov_b32_e32 v23, v13
	;; [unrolled: 4-line block ×6, first 2 shown]
	v_pk_add_f32 v[0:1], v[170:171], v[0:1]
	v_pk_add_f32 v[10:11], v[138:139], v[10:11]
	ds_write2_b64 v54, v[0:1], v[10:11] offset0:10 offset1:11
	v_pk_fma_f32 v[0:1], v[188:189], s[22:23], v[162:163] neg_lo:[0,0,1] neg_hi:[0,0,1]
	v_pk_fma_f32 v[10:11], v[46:47], s[64:65], v[42:43] neg_lo:[0,0,1] neg_hi:[0,0,1]
	v_mov_b32_e32 v175, v1
	v_pk_fma_f32 v[0:1], v[40:41], s[20:21], v[166:167] neg_lo:[0,0,1] neg_hi:[0,0,1]
	v_mov_b32_e32 v169, v11
	v_mov_b32_e32 v165, v1
	v_pk_add_f32 v[0:1], v[32:33], v[174:175]
	v_pk_fma_f32 v[10:11], v[52:53], s[16:17], v[38:39] neg_lo:[0,0,1] neg_hi:[0,0,1]
	v_pk_add_f32 v[0:1], v[164:165], v[0:1]
	v_mov_b32_e32 v173, v11
	v_pk_add_f32 v[0:1], v[168:169], v[0:1]
	v_pk_fma_f32 v[10:11], v[80:81], s[42:43], v[34:35] neg_lo:[0,0,1] neg_hi:[0,0,1]
	v_pk_add_f32 v[0:1], v[172:173], v[0:1]
	v_mov_b32_e32 v97, v11
	v_pk_fma_f32 v[10:11], v[86:87], s[68:69], v[78:79] neg_lo:[0,0,1] neg_hi:[0,0,1]
	v_pk_add_f32 v[0:1], v[96:97], v[0:1]
	v_mov_b32_e32 v51, v11
	;; [unrolled: 3-line block ×3, first 2 shown]
	v_pk_fma_f32 v[10:11], v[98:99], s[18:19], v[186:187] neg_lo:[0,0,1] neg_hi:[0,0,1]
	v_pk_fma_f32 v[2:3], v[188:189], s[10:11], v[2:3] neg_lo:[0,0,1] neg_hi:[0,0,1]
	v_pk_add_f32 v[0:1], v[44:45], v[0:1]
	v_mov_b32_e32 v9, v11
	v_mov_b32_e32 v235, v3
	v_pk_fma_f32 v[2:3], v[40:41], s[42:43], v[76:77] neg_lo:[0,0,1] neg_hi:[0,0,1]
	v_pk_add_f32 v[0:1], v[8:9], v[0:1]
	v_mov_b32_e32 v241, v3
	v_pk_add_f32 v[2:3], v[32:33], v[234:235]
	v_pk_fma_f32 v[8:9], v[46:47], s[24:25], v[66:67] neg_lo:[0,0,1] neg_hi:[0,0,1]
	v_pk_add_f32 v[2:3], v[240:241], v[2:3]
	v_mov_b32_e32 v245, v9
	v_pk_fma_f32 v[8:9], v[52:53], s[52:53], v[250:251] neg_lo:[0,0,1] neg_hi:[0,0,1]
	v_pk_add_f32 v[2:3], v[244:245], v[2:3]
	v_mov_b32_e32 v249, v9
	;; [unrolled: 3-line block ×6, first 2 shown]
	v_pk_add_f32 v[2:3], v[4:5], v[2:3]
	ds_write2_b64 v54, v[0:1], v[2:3] offset0:12 offset1:13
	v_pk_fma_f32 v[2:3], v[46:47], s[62:63], v[142:143] neg_lo:[0,0,1] neg_hi:[0,0,1]
	v_accvgpr_read_b32 v4, a178
	v_mov_b32_e32 v211, v3
	v_pk_fma_f32 v[2:3], v[52:53], s[24:25], v[216:217] neg_lo:[0,0,1] neg_hi:[0,0,1]
	v_accvgpr_read_b32 v5, a179
	v_mov_b32_e32 v215, v3
	v_pk_fma_f32 v[2:3], v[80:81], s[64:65], v[120:121] neg_lo:[0,0,1] neg_hi:[0,0,1]
	v_pk_fma_f32 v[4:5], v[46:47], s[18:19], v[4:5] neg_lo:[0,0,1] neg_hi:[0,0,1]
	v_mov_b32_e32 v219, v3
	v_pk_fma_f32 v[2:3], v[86:87], s[8:9], v[116:117] neg_lo:[0,0,1] neg_hi:[0,0,1]
	v_mov_b32_e32 v127, v5
	v_mov_b32_e32 v223, v3
	v_pk_fma_f32 v[2:3], v[92:93], s[10:11], v[114:115] neg_lo:[0,0,1] neg_hi:[0,0,1]
	v_accvgpr_read_b32 v4, a180
	v_mov_b32_e32 v227, v3
	v_pk_fma_f32 v[2:3], v[98:99], s[28:29], v[102:103] neg_lo:[0,0,1] neg_hi:[0,0,1]
	v_accvgpr_read_b32 v5, a181
	v_mov_b32_e32 v231, v3
	v_accvgpr_read_b32 v2, a174
	v_accvgpr_read_b32 v3, a175
	v_pk_fma_f32 v[4:5], v[52:53], s[42:43], v[4:5] neg_lo:[0,0,1] neg_hi:[0,0,1]
	v_accvgpr_read_b32 v0, a190
	v_pk_fma_f32 v[2:3], v[188:189], s[14:15], v[2:3] neg_lo:[0,0,1] neg_hi:[0,0,1]
	v_mov_b32_e32 v133, v5
	v_accvgpr_read_b32 v4, a182
	v_accvgpr_read_b32 v1, a191
	v_mov_b32_e32 v119, v3
	v_accvgpr_read_b32 v2, a176
	v_accvgpr_read_b32 v5, a183
	v_pk_fma_f32 v[0:1], v[188:189], s[16:17], v[0:1] neg_lo:[0,0,1] neg_hi:[0,0,1]
	v_accvgpr_read_b32 v3, a177
	v_pk_fma_f32 v[4:5], v[80:81], s[20:21], v[4:5] neg_lo:[0,0,1] neg_hi:[0,0,1]
	v_mov_b32_e32 v203, v1
	v_pk_fma_f32 v[0:1], v[40:41], s[18:19], v[148:149] neg_lo:[0,0,1] neg_hi:[0,0,1]
	v_pk_fma_f32 v[2:3], v[40:41], s[10:11], v[2:3] neg_lo:[0,0,1] neg_hi:[0,0,1]
	v_mov_b32_e32 v135, v5
	v_accvgpr_read_b32 v4, a186
	v_mov_b32_e32 v207, v1
	v_pk_add_f32 v[0:1], v[32:33], v[202:203]
	v_mov_b32_e32 v123, v3
	v_pk_add_f32 v[2:3], v[32:33], v[118:119]
	v_accvgpr_read_b32 v5, a187
	v_pk_add_f32 v[0:1], v[206:207], v[0:1]
	v_pk_add_f32 v[2:3], v[122:123], v[2:3]
	v_pk_fma_f32 v[4:5], v[86:87], s[24:25], v[4:5] neg_lo:[0,0,1] neg_hi:[0,0,1]
	v_pk_add_f32 v[0:1], v[210:211], v[0:1]
	v_pk_add_f32 v[2:3], v[126:127], v[2:3]
	v_mov_b32_e32 v141, v5
	v_accvgpr_read_b32 v4, a188
	v_pk_add_f32 v[0:1], v[214:215], v[0:1]
	v_pk_add_f32 v[2:3], v[132:133], v[2:3]
	v_accvgpr_read_b32 v5, a189
	v_pk_add_f32 v[0:1], v[218:219], v[0:1]
	v_pk_add_f32 v[2:3], v[134:135], v[2:3]
	v_pk_fma_f32 v[4:5], v[92:93], s[48:49], v[4:5] neg_lo:[0,0,1] neg_hi:[0,0,1]
	v_pk_add_f32 v[0:1], v[222:223], v[0:1]
	v_pk_add_f32 v[2:3], v[140:141], v[2:3]
	v_mov_b32_e32 v147, v5
	v_pk_fma_f32 v[4:5], v[98:99], s[52:53], v[194:195] neg_lo:[0,0,1] neg_hi:[0,0,1]
	v_pk_add_f32 v[0:1], v[226:227], v[0:1]
	v_pk_add_f32 v[2:3], v[146:147], v[2:3]
	v_mov_b32_e32 v151, v5
	v_pk_add_f32 v[0:1], v[230:231], v[0:1]
	v_pk_add_f32 v[2:3], v[150:151], v[2:3]
	ds_write2_b64 v54, v[0:1], v[2:3] offset0:14 offset1:15
	v_accvgpr_read_b32 v0, a154
	v_accvgpr_read_b32 v1, a155
	v_pk_fma_f32 v[0:1], v[188:189], s[8:9], v[0:1] neg_lo:[0,0,1] neg_hi:[0,0,1]
	v_accvgpr_read_b32 v229, a71
	v_mov_b32_e32 v75, v1
	v_pk_add_f32 v[0:1], v[32:33], v[74:75]
	v_accvgpr_read_b32 v228, a70
	v_accvgpr_write_b32 a155, v1
	v_accvgpr_write_b32 a154, v0
	v_pk_add_f32 v[162:163], v[228:229], v[192:193]
	v_pk_add_f32 v[0:1], v[192:193], v[228:229] neg_lo:[0,1] neg_hi:[0,1]
	v_mov_b32_e32 v149, v163
	v_mov_b32_e32 v163, v0
	;; [unrolled: 1-line block ×3, first 2 shown]
	v_pk_mul_f32 v[118:119], v[162:163], s[38:39]
	v_accvgpr_read_b32 v196, a74
	v_pk_fma_f32 v[2:3], v[148:149], s[8:9], v[118:119]
	v_pk_fma_f32 v[0:1], v[148:149], s[8:9], v[118:119] neg_lo:[0,0,1] neg_hi:[0,0,1]
	v_accvgpr_write_b32 a107, v3
	v_mov_b32_e32 v0, v2
	v_accvgpr_read_b32 v2, a66
	v_accvgpr_read_b32 v3, a67
	v_pk_add_f32 v[168:169], v[2:3], v[196:197] neg_lo:[0,1] neg_hi:[0,1]
	s_mov_b32 s62, s15
	v_accvgpr_read_b32 v4, a68
	v_accvgpr_read_b32 v5, a69
	v_pk_add_f32 v[188:189], v[2:3], v[196:197]
	v_pk_mul_f32 v[2:3], v[168:169], s[14:15] op_sel:[1,0] op_sel_hi:[0,0]
	v_pk_fma_f32 v[4:5], v[188:189], s[62:63], v[2:3] op_sel_hi:[1,0,1]
	v_pk_fma_f32 v[106:107], v[188:189], s[62:63], v[2:3] op_sel_hi:[1,0,1] neg_lo:[0,0,1] neg_hi:[0,0,1]
	v_pk_add_f32 v[0:1], v[0:1], v[190:191]
	v_mov_b32_e32 v2, v4
	v_mov_b32_e32 v3, v107
	;; [unrolled: 1-line block ×4, first 2 shown]
	v_pk_mul_f32 v[18:19], v[162:163], s[36:37]
	v_accvgpr_write_b32 a71, v5
	v_pk_add_f32 v[0:1], v[2:3], v[0:1]
	v_mov_b32_e32 v188, v169
	v_pk_fma_f32 v[4:5], v[148:149], s[14:15], v[18:19]
	v_pk_fma_f32 v[2:3], v[148:149], s[14:15], v[18:19] neg_lo:[0,0,1] neg_hi:[0,0,1]
	v_pk_mul_f32 v[140:141], v[186:187], s[34:35]
	v_accvgpr_write_b32 a115, v5
	v_mov_b32_e32 v2, v4
	v_pk_fma_f32 v[10:11], v[188:189], s[10:11], v[140:141]
	v_pk_fma_f32 v[4:5], v[188:189], s[10:11], v[140:141] neg_lo:[0,0,1] neg_hi:[0,0,1]
	v_pk_add_f32 v[2:3], v[2:3], v[190:191]
	v_mov_b32_e32 v4, v10
	v_pk_mul_f32 v[152:153], v[162:163], s[40:41]
	v_pk_add_f32 v[2:3], v[4:5], v[2:3]
	v_pk_fma_f32 v[150:151], v[148:149], s[16:17], v[152:153]
	v_pk_fma_f32 v[4:5], v[148:149], s[16:17], v[152:153] neg_lo:[0,0,1] neg_hi:[0,0,1]
	v_pk_mul_f32 v[158:159], v[186:187], s[30:31]
	v_mov_b32_e32 v4, v150
	v_pk_fma_f32 v[156:157], v[188:189], s[18:19], v[158:159]
	v_pk_fma_f32 v[8:9], v[188:189], s[18:19], v[158:159] neg_lo:[0,0,1] neg_hi:[0,0,1]
	v_pk_add_f32 v[4:5], v[4:5], v[190:191]
	v_mov_b32_e32 v8, v156
	v_pk_mul_f32 v[206:207], v[162:163], s[34:35]
	v_pk_add_f32 v[4:5], v[8:9], v[4:5]
	v_pk_fma_f32 v[20:21], v[148:149], s[10:11], v[206:207]
	v_pk_fma_f32 v[8:9], v[148:149], s[10:11], v[206:207] neg_lo:[0,0,1] neg_hi:[0,0,1]
	v_pk_mul_f32 v[210:211], v[186:187], s[44:45]
	v_mov_b32_e32 v8, v20
	v_pk_fma_f32 v[24:25], v[188:189], s[42:43], v[210:211]
	v_pk_fma_f32 v[12:13], v[188:189], s[42:43], v[210:211] neg_lo:[0,0,1] neg_hi:[0,0,1]
	v_accvgpr_read_b32 v239, a161
	v_mov_b32_e32 v12, v24
	v_pk_add_f32 v[8:9], v[8:9], v[190:191]
	v_accvgpr_read_b32 v238, a160
	v_pk_add_f32 v[8:9], v[12:13], v[8:9]
	s_mov_b32 s36, s17
	v_pk_mul_f32 v[12:13], v[238:239], s[16:17] op_sel_hi:[1,0]
	s_mov_b32 s34, s19
	v_pk_fma_f32 v[132:133], v[58:59], s[36:37], v[12:13] op_sel:[0,0,1] op_sel_hi:[1,0,0]
	v_pk_fma_f32 v[134:135], v[58:59], s[36:37], v[12:13] op_sel:[0,0,1] op_sel_hi:[1,0,0] neg_lo:[0,0,1] neg_hi:[0,0,1]
	v_mov_b32_e32 v12, v132
	v_mov_b32_e32 v13, v135
	v_pk_add_f32 v[0:1], v[12:13], v[0:1]
	v_pk_mul_f32 v[12:13], v[238:239], s[18:19] op_sel_hi:[1,0]
	v_accvgpr_read_b32 v237, a103
	v_pk_fma_f32 v[14:15], v[58:59], s[34:35], v[12:13] op_sel:[0,0,1] op_sel_hi:[1,0,0]
	v_pk_fma_f32 v[122:123], v[58:59], s[34:35], v[12:13] op_sel:[0,0,1] op_sel_hi:[1,0,0] neg_lo:[0,0,1] neg_hi:[0,0,1]
	v_mov_b32_e32 v12, v14
	v_mov_b32_e32 v13, v123
	v_accvgpr_write_b32 a111, v15
	v_pk_add_f32 v[2:3], v[12:13], v[2:3]
	v_accvgpr_read_b32 v12, a158
	v_accvgpr_read_b32 v14, a156
	v_accvgpr_read_b32 v13, a159
	v_accvgpr_read_b32 v15, a157
	v_accvgpr_read_b32 v233, a105
	v_accvgpr_read_b32 v236, a102
	v_mov_b32_e32 v107, v13
	v_mov_b32_e32 v13, v15
	v_pk_add_f32 v[4:5], v[12:13], v[4:5]
	v_mov_b32_e32 v12, v236
	v_mov_b32_e32 v13, v233
	v_pk_mul_f32 v[230:231], v[162:163], s[26:27]
	v_pk_add_f32 v[8:9], v[12:13], v[8:9]
	v_pk_fma_f32 v[222:223], v[148:149], s[22:23], v[230:231]
	v_pk_fma_f32 v[12:13], v[148:149], s[22:23], v[230:231] neg_lo:[0,0,1] neg_hi:[0,0,1]
	v_pk_mul_f32 v[38:39], v[186:187], s[60:61]
	v_mov_b32_e32 v10, v14
	v_mov_b32_e32 v12, v222
	v_pk_fma_f32 v[218:219], v[188:189], s[20:21], v[38:39]
	v_pk_fma_f32 v[14:15], v[188:189], s[20:21], v[38:39] neg_lo:[0,0,1] neg_hi:[0,0,1]
	v_pk_add_f32 v[12:13], v[12:13], v[190:191]
	v_mov_b32_e32 v14, v218
	v_pk_add_f32 v[12:13], v[14:15], v[12:13]
	v_accvgpr_read_b32 v14, a170
	v_accvgpr_read_b32 v15, a171
	v_pk_fma_f32 v[30:31], v[58:59], s[62:63], v[14:15] op_sel:[0,0,1] op_sel_hi:[1,0,0]
	v_pk_fma_f32 v[32:33], v[58:59], s[62:63], v[14:15] op_sel:[0,0,1] op_sel_hi:[1,0,0] neg_lo:[0,0,1] neg_hi:[0,0,1]
	v_accvgpr_read_b32 v42, a62
	v_accvgpr_read_b32 v34, a58
	;; [unrolled: 1-line block ×3, first 2 shown]
	v_mov_b32_e32 v14, v30
	v_mov_b32_e32 v15, v33
	v_accvgpr_read_b32 v44, a64
	v_accvgpr_read_b32 v45, a65
	;; [unrolled: 1-line block ×4, first 2 shown]
	v_pk_add_f32 v[16:17], v[14:15], v[12:13]
	v_pk_add_f32 v[60:61], v[44:45], v[34:35]
	v_pk_mul_f32 v[12:13], v[26:27], s[10:11] op_sel:[1,0] op_sel_hi:[0,0]
	v_pk_fma_f32 v[14:15], v[60:61], s[56:57], v[12:13] op_sel_hi:[1,0,1]
	v_pk_fma_f32 v[202:203], v[60:61], s[56:57], v[12:13] op_sel_hi:[1,0,1] neg_lo:[0,0,1] neg_hi:[0,0,1]
	v_mov_b32_e32 v12, v14
	v_mov_b32_e32 v13, v203
	v_pk_add_f32 v[22:23], v[12:13], v[0:1]
	v_pk_mul_f32 v[0:1], v[26:27], s[42:43] op_sel:[1,0] op_sel_hi:[0,0]
	v_pk_fma_f32 v[12:13], v[60:61], s[44:45], v[0:1] op_sel_hi:[1,0,1]
	v_pk_fma_f32 v[146:147], v[60:61], s[44:45], v[0:1] op_sel_hi:[1,0,1] neg_lo:[0,0,1] neg_hi:[0,0,1]
	v_mov_b32_e32 v0, v12
	v_mov_b32_e32 v1, v147
	v_pk_add_f32 v[2:3], v[0:1], v[2:3]
	v_pk_mul_f32 v[0:1], v[26:27], s[24:25] op_sel:[1,0] op_sel_hi:[0,0]
	v_pk_fma_f32 v[26:27], v[60:61], s[26:27], v[0:1] op_sel_hi:[1,0,1]
	v_pk_fma_f32 v[126:127], v[60:61], s[26:27], v[0:1] op_sel_hi:[1,0,1] neg_lo:[0,0,1] neg_hi:[0,0,1]
	v_mov_b32_e32 v0, v26
	v_mov_b32_e32 v1, v127
	v_pk_add_f32 v[4:5], v[0:1], v[4:5]
	v_accvgpr_read_b32 v0, a166
	v_accvgpr_read_b32 v1, a167
	v_accvgpr_mov_b32 a89, a65
	v_accvgpr_read_b32 v28, a168
	v_pk_fma_f32 v[124:125], v[60:61], s[38:39], v[0:1] op_sel_hi:[1,0,1]
	v_pk_fma_f32 v[114:115], v[60:61], s[38:39], v[0:1] op_sel_hi:[1,0,1] neg_lo:[0,0,1] neg_hi:[0,0,1]
	v_accvgpr_mov_b32 a87, a63
	v_accvgpr_read_b32 v29, a169
	v_mov_b32_e32 v0, v124
	v_mov_b32_e32 v1, v115
	v_accvgpr_write_b32 a87, v27
	v_pk_add_f32 v[26:27], v[0:1], v[8:9]
	v_pk_mul_f32 v[0:1], v[28:29], s[16:17] op_sel:[1,0] op_sel_hi:[0,0]
	v_pk_fma_f32 v[224:225], v[60:61], s[36:37], v[0:1] op_sel_hi:[1,0,1]
	v_pk_fma_f32 v[108:109], v[60:61], s[36:37], v[0:1] op_sel_hi:[1,0,1] neg_lo:[0,0,1] neg_hi:[0,0,1]
	v_mov_b32_e32 v0, v224
	v_mov_b32_e32 v1, v109
	v_pk_mul_f32 v[66:67], v[162:163], s[30:31]
	v_pk_add_f32 v[16:17], v[0:1], v[16:17]
	v_pk_fma_f32 v[96:97], v[148:149], s[18:19], v[66:67]
	v_pk_fma_f32 v[0:1], v[148:149], s[18:19], v[66:67] neg_lo:[0,0,1] neg_hi:[0,0,1]
	v_pk_mul_f32 v[62:63], v[186:187], s[58:59]
	v_mov_b32_e32 v0, v96
	v_pk_fma_f32 v[172:173], v[188:189], s[24:25], v[62:63]
	v_pk_fma_f32 v[8:9], v[188:189], s[24:25], v[62:63] neg_lo:[0,0,1] neg_hi:[0,0,1]
	v_pk_add_f32 v[0:1], v[0:1], v[190:191]
	v_mov_b32_e32 v8, v172
	v_pk_add_f32 v[8:9], v[8:9], v[0:1]
	v_pk_mul_f32 v[0:1], v[238:239], s[8:9] op_sel_hi:[1,0]
	s_mov_b32 s30, s21
	v_pk_fma_f32 v[90:91], v[58:59], s[38:39], v[0:1] op_sel:[0,0,1] op_sel_hi:[1,0,0]
	v_pk_fma_f32 v[0:1], v[58:59], s[38:39], v[0:1] op_sel:[0,0,1] op_sel_hi:[1,0,0] neg_lo:[0,0,1] neg_hi:[0,0,1]
	v_mov_b32_e32 v28, v90
	v_mov_b32_e32 v29, v1
	v_pk_add_f32 v[8:9], v[28:29], v[8:9]
	v_accvgpr_read_b32 v28, a94
	v_accvgpr_read_b32 v29, a95
	v_pk_fma_f32 v[84:85], v[60:61], s[30:31], v[28:29] op_sel_hi:[1,0,1]
	v_pk_fma_f32 v[70:71], v[60:61], s[30:31], v[28:29] op_sel_hi:[1,0,1] neg_lo:[0,0,1] neg_hi:[0,0,1]
	v_accvgpr_read_b32 v43, a63
	v_accvgpr_read_b32 v36, a60
	;; [unrolled: 1-line block ×3, first 2 shown]
	v_mov_b32_e32 v28, v84
	v_mov_b32_e32 v29, v71
	v_pk_add_f32 v[34:35], v[28:29], v[8:9]
	v_pk_add_f32 v[130:131], v[42:43], v[36:37]
	v_pk_mul_f32 v[8:9], v[48:49], s[22:23] op_sel:[1,0] op_sel_hi:[0,0]
	v_pk_fma_f32 v[28:29], v[130:131], s[26:27], v[8:9] op_sel_hi:[1,0,1]
	v_pk_fma_f32 v[226:227], v[130:131], s[26:27], v[8:9] op_sel_hi:[1,0,1] neg_lo:[0,0,1] neg_hi:[0,0,1]
	v_mov_b32_e32 v8, v28
	v_mov_b32_e32 v9, v227
	v_pk_add_f32 v[22:23], v[8:9], v[22:23]
	v_pk_mul_f32 v[8:9], v[48:49], s[20:21] op_sel:[1,0] op_sel_hi:[0,0]
	v_pk_fma_f32 v[138:139], v[130:131], s[30:31], v[8:9] op_sel_hi:[1,0,1]
	v_pk_fma_f32 v[216:217], v[130:131], s[30:31], v[8:9] op_sel_hi:[1,0,1] neg_lo:[0,0,1] neg_hi:[0,0,1]
	v_accvgpr_read_b32 v36, a162
	v_mov_b32_e32 v8, v138
	v_mov_b32_e32 v9, v217
	v_accvgpr_read_b32 v37, a163
	v_pk_add_f32 v[2:3], v[8:9], v[2:3]
	v_pk_fma_f32 v[8:9], v[130:131], s[62:63], v[36:37] op_sel_hi:[1,0,1]
	v_pk_fma_f32 v[194:195], v[130:131], s[62:63], v[36:37] op_sel_hi:[1,0,1] neg_lo:[0,0,1] neg_hi:[0,0,1]
	v_mov_b32_e32 v36, v8
	v_mov_b32_e32 v37, v195
	v_pk_add_f32 v[36:37], v[36:37], v[4:5]
	v_pk_mul_f32 v[4:5], v[48:49], s[16:17] op_sel:[1,0] op_sel_hi:[0,0]
	v_pk_fma_f32 v[72:73], v[130:131], s[36:37], v[4:5] op_sel_hi:[1,0,1]
	v_pk_fma_f32 v[74:75], v[130:131], s[36:37], v[4:5] op_sel_hi:[1,0,1] neg_lo:[0,0,1] neg_hi:[0,0,1]
	v_mov_b32_e32 v4, v72
	v_mov_b32_e32 v5, v75
	v_pk_add_f32 v[26:27], v[4:5], v[26:27]
	v_pk_mul_f32 v[4:5], v[48:49], s[42:43] op_sel:[1,0] op_sel_hi:[0,0]
	v_pk_fma_f32 v[44:45], v[130:131], s[44:45], v[4:5] op_sel_hi:[1,0,1]
	v_pk_fma_f32 v[154:155], v[130:131], s[44:45], v[4:5] op_sel_hi:[1,0,1] neg_lo:[0,0,1] neg_hi:[0,0,1]
	v_mov_b32_e32 v4, v44
	v_mov_b32_e32 v5, v155
	v_pk_add_f32 v[16:17], v[4:5], v[16:17]
	v_accvgpr_read_b32 v4, a184
	v_accvgpr_read_b32 v5, a185
	v_pk_fma_f32 v[110:111], v[130:131], s[56:57], v[4:5] op_sel_hi:[1,0,1]
	v_pk_fma_f32 v[142:143], v[130:131], s[56:57], v[4:5] op_sel_hi:[1,0,1] neg_lo:[0,0,1] neg_hi:[0,0,1]
	v_accvgpr_read_b32 v105, a53
	v_accvgpr_read_b32 v167, a57
	;; [unrolled: 1-line block ×3, first 2 shown]
	v_mov_b32_e32 v4, v110
	v_mov_b32_e32 v5, v143
	v_accvgpr_read_b32 v103, a51
	v_accvgpr_read_b32 v102, a50
	;; [unrolled: 1-line block ×4, first 2 shown]
	v_pk_add_f32 v[34:35], v[4:5], v[34:35]
	v_pk_add_f32 v[144:145], v[166:167], v[102:103]
	v_pk_mul_f32 v[4:5], v[56:57], s[18:19] op_sel:[1,0] op_sel_hi:[0,0]
	v_pk_fma_f32 v[248:249], v[144:145], s[34:35], v[4:5] op_sel_hi:[1,0,1]
	v_pk_fma_f32 v[250:251], v[144:145], s[34:35], v[4:5] op_sel_hi:[1,0,1] neg_lo:[0,0,1] neg_hi:[0,0,1]
	v_mov_b32_e32 v4, v248
	v_mov_b32_e32 v5, v251
	v_pk_add_f32 v[22:23], v[4:5], v[22:23]
	v_pk_mul_f32 v[4:5], v[56:57], s[24:25] op_sel:[1,0] op_sel_hi:[0,0]
	v_pk_fma_f32 v[42:43], v[144:145], s[26:27], v[4:5] op_sel_hi:[1,0,1]
	v_pk_fma_f32 v[240:241], v[144:145], s[26:27], v[4:5] op_sel_hi:[1,0,1] neg_lo:[0,0,1] neg_hi:[0,0,1]
	v_mov_b32_e32 v4, v42
	v_mov_b32_e32 v5, v241
	v_pk_mul_f32 v[50:51], v[56:57], s[8:9] op_sel:[1,0] op_sel_hi:[0,0]
	v_pk_add_f32 v[2:3], v[4:5], v[2:3]
	v_pk_fma_f32 v[4:5], v[144:145], s[38:39], v[50:51] op_sel_hi:[1,0,1]
	v_pk_fma_f32 v[174:175], v[144:145], s[38:39], v[50:51] op_sel_hi:[1,0,1] neg_lo:[0,0,1] neg_hi:[0,0,1]
	v_mov_b32_e32 v50, v4
	v_mov_b32_e32 v51, v175
	v_pk_add_f32 v[36:37], v[50:51], v[36:37]
	v_accvgpr_read_b32 v50, a100
	v_accvgpr_read_b32 v51, a101
	v_pk_fma_f32 v[56:57], v[144:145], s[30:31], v[50:51] op_sel_hi:[1,0,1]
	v_pk_fma_f32 v[214:215], v[144:145], s[30:31], v[50:51] op_sel_hi:[1,0,1] neg_lo:[0,0,1] neg_hi:[0,0,1]
	v_accvgpr_read_b32 v64, a172
	v_mov_b32_e32 v50, v56
	v_mov_b32_e32 v51, v215
	v_accvgpr_read_b32 v65, a173
	v_accvgpr_read_b32 v243, a85
	v_pk_add_f32 v[50:51], v[50:51], v[26:27]
	v_pk_fma_f32 v[26:27], v[144:145], s[56:57], v[64:65] op_sel_hi:[1,0,1]
	v_pk_fma_f32 v[116:117], v[144:145], s[56:57], v[64:65] op_sel_hi:[1,0,1] neg_lo:[0,0,1] neg_hi:[0,0,1]
	v_accvgpr_read_b32 v242, a84
	v_mov_b32_e32 v64, v26
	v_mov_b32_e32 v65, v117
	v_pk_add_f32 v[64:65], v[64:65], v[16:17]
	v_pk_mul_f32 v[16:17], v[242:243], s[14:15] op_sel:[1,0] op_sel_hi:[0,0]
	v_pk_fma_f32 v[112:113], v[144:145], s[62:63], v[16:17] op_sel_hi:[1,0,1]
	v_pk_fma_f32 v[76:77], v[144:145], s[62:63], v[16:17] op_sel_hi:[1,0,1] neg_lo:[0,0,1] neg_hi:[0,0,1]
	v_mov_b32_e32 v16, v112
	v_mov_b32_e32 v17, v77
	v_accvgpr_read_b32 v104, a52
	v_accvgpr_read_b32 v165, a55
	;; [unrolled: 1-line block ×3, first 2 shown]
	v_pk_add_f32 v[78:79], v[16:17], v[34:35]
	v_accvgpr_read_b32 v16, a134
	v_pk_add_f32 v[170:171], v[164:165], v[104:105]
	v_accvgpr_read_b32 v17, a135
	v_pk_fma_f32 v[34:35], v[170:171], s[30:31], v[16:17] op_sel_hi:[1,0,1]
	v_pk_fma_f32 v[166:167], v[170:171], s[30:31], v[16:17] op_sel_hi:[1,0,1] neg_lo:[0,0,1] neg_hi:[0,0,1]
	v_mov_b32_e32 v16, v34
	v_mov_b32_e32 v17, v167
	v_pk_add_f32 v[176:177], v[16:17], v[22:23]
	v_accvgpr_read_b32 v16, a142
	v_accvgpr_read_b32 v17, a143
	;; [unrolled: 1-line block ×3, first 2 shown]
	v_pk_fma_f32 v[252:253], v[170:171], s[36:37], v[16:17] op_sel_hi:[1,0,1]
	v_pk_fma_f32 v[254:255], v[170:171], s[36:37], v[16:17] op_sel_hi:[1,0,1] neg_lo:[0,0,1] neg_hi:[0,0,1]
	v_accvgpr_read_b32 v105, a153
	v_mov_b32_e32 v16, v252
	v_mov_b32_e32 v17, v255
	v_pk_mul_f32 v[22:23], v[104:105], s[10:11] op_sel:[1,0] op_sel_hi:[0,0]
	v_pk_add_f32 v[2:3], v[16:17], v[2:3]
	v_pk_fma_f32 v[16:17], v[170:171], s[56:57], v[22:23] op_sel_hi:[1,0,1]
	v_pk_fma_f32 v[244:245], v[170:171], s[56:57], v[22:23] op_sel_hi:[1,0,1] neg_lo:[0,0,1] neg_hi:[0,0,1]
	v_mov_b32_e32 v22, v16
	v_mov_b32_e32 v23, v245
	v_pk_add_f32 v[102:103], v[22:23], v[36:37]
	v_accvgpr_read_b32 v22, a164
	v_accvgpr_read_b32 v23, a165
	v_pk_fma_f32 v[36:37], v[170:171], s[34:35], v[22:23] op_sel_hi:[1,0,1]
	v_pk_fma_f32 v[234:235], v[170:171], s[34:35], v[22:23] op_sel_hi:[1,0,1] neg_lo:[0,0,1] neg_hi:[0,0,1]
	v_mov_b32_e32 v22, v36
	v_mov_b32_e32 v23, v235
	v_pk_mul_f32 v[68:69], v[104:105], s[8:9] op_sel:[1,0] op_sel_hi:[0,0]
	v_pk_add_f32 v[50:51], v[22:23], v[50:51]
	v_pk_fma_f32 v[22:23], v[170:171], s[38:39], v[68:69] op_sel_hi:[1,0,1]
	v_pk_fma_f32 v[196:197], v[170:171], s[38:39], v[68:69] op_sel_hi:[1,0,1] neg_lo:[0,0,1] neg_hi:[0,0,1]
	v_mov_b32_e32 v68, v22
	v_mov_b32_e32 v69, v197
	v_pk_add_f32 v[136:137], v[68:69], v[64:65]
	v_pk_mul_f32 v[64:65], v[104:105], s[42:43] op_sel:[1,0] op_sel_hi:[0,0]
	v_pk_fma_f32 v[68:69], v[170:171], s[44:45], v[64:65] op_sel_hi:[1,0,1]
	v_pk_fma_f32 v[160:161], v[170:171], s[44:45], v[64:65] op_sel_hi:[1,0,1] neg_lo:[0,0,1] neg_hi:[0,0,1]
	v_mov_b32_e32 v64, v68
	v_mov_b32_e32 v65, v161
	v_pk_add_f32 v[178:179], v[64:65], v[78:79]
	v_pk_mul_f32 v[64:65], v[162:163], s[44:45]
	v_mov_b64_e32 v[246:247], v[104:105]
	v_pk_fma_f32 v[78:79], v[148:149], s[42:43], v[64:65] neg_lo:[1,0,0] neg_hi:[1,0,0]
	v_pk_fma_f32 v[104:105], v[148:149], s[42:43], v[64:65]
	v_pk_mul_f32 v[120:121], v[186:187], s[54:55]
	v_mov_b32_e32 v79, v105
	v_pk_fma_f32 v[128:129], v[168:169], s[52:53], v[120:121] op_sel:[1,0,0] neg_lo:[1,0,0] neg_hi:[1,0,0]
	v_pk_fma_f32 v[164:165], v[188:189], s[52:53], v[120:121]
	v_accvgpr_read_b32 v181, a131
	v_mov_b32_e32 v129, v165
	v_pk_add_f32 v[78:79], v[78:79], v[190:191]
	v_accvgpr_read_b32 v180, a130
	v_pk_add_f32 v[78:79], v[128:129], v[78:79]
	v_pk_fma_f32 v[128:129], v[58:59], s[30:31], v[180:181] op_sel:[0,0,1] op_sel_hi:[1,0,0] neg_lo:[0,0,1] neg_hi:[0,0,1]
	v_pk_fma_f32 v[180:181], v[58:59], s[30:31], v[180:181] op_sel:[0,0,1] op_sel_hi:[1,0,0]
	v_accvgpr_read_b32 v199, a147
	v_mov_b32_e32 v182, v128
	v_mov_b32_e32 v183, v181
	v_accvgpr_read_b32 v198, a146
	v_pk_add_f32 v[78:79], v[182:183], v[78:79]
	v_pk_fma_f32 v[182:183], v[60:61], s[62:63], v[198:199] op_sel_hi:[1,0,1] neg_lo:[0,0,1] neg_hi:[0,0,1]
	v_pk_fma_f32 v[198:199], v[60:61], s[62:63], v[198:199] op_sel_hi:[1,0,1]
	v_mov_b32_e32 v200, v182
	v_mov_b32_e32 v201, v199
	v_pk_fma_f32 v[64:65], v[148:149], s[42:43], v[64:65] neg_lo:[0,0,1] neg_hi:[0,0,1]
	v_pk_add_f32 v[78:79], v[200:201], v[78:79]
	v_pk_mul_f32 v[200:201], v[48:49], s[18:19] op_sel:[1,0] op_sel_hi:[0,0]
	v_mov_b32_e32 v105, v65
	v_pk_fma_f32 v[64:65], v[188:189], s[52:53], v[120:121] neg_lo:[0,0,1] neg_hi:[0,0,1]
	v_pk_fma_f32 v[204:205], v[130:131], s[34:35], v[200:201] op_sel_hi:[1,0,1] neg_lo:[0,0,1] neg_hi:[0,0,1]
	v_pk_fma_f32 v[200:201], v[130:131], s[34:35], v[200:201] op_sel_hi:[1,0,1]
	v_accvgpr_read_b32 v213, a139
	v_mov_b32_e32 v165, v65
	v_pk_add_f32 v[64:65], v[104:105], v[190:191]
	v_mov_b32_e32 v208, v204
	v_mov_b32_e32 v209, v201
	v_accvgpr_read_b32 v212, a138
	v_mov_b32_e32 v181, v129
	v_pk_add_f32 v[64:65], v[164:165], v[64:65]
	v_pk_add_f32 v[78:79], v[208:209], v[78:79]
	v_pk_fma_f32 v[208:209], v[144:145], s[36:37], v[212:213] op_sel_hi:[1,0,1] neg_lo:[0,0,1] neg_hi:[0,0,1]
	v_pk_fma_f32 v[212:213], v[144:145], s[36:37], v[212:213] op_sel_hi:[1,0,1]
	v_mov_b32_e32 v199, v183
	v_pk_add_f32 v[64:65], v[180:181], v[64:65]
	v_pk_mul_f32 v[104:105], v[246:247], s[22:23] op_sel:[1,0] op_sel_hi:[0,0]
	v_mov_b32_e32 v220, v208
	v_mov_b32_e32 v221, v213
	v_mov_b32_e32 v201, v205
	v_pk_add_f32 v[64:65], v[198:199], v[64:65]
	v_pk_fma_f32 v[120:121], v[170:171], s[26:27], v[104:105] op_sel_hi:[1,0,1] neg_lo:[0,0,1] neg_hi:[0,0,1]
	v_pk_fma_f32 v[104:105], v[170:171], s[26:27], v[104:105] op_sel_hi:[1,0,1]
	v_accvgpr_read_b32 v247, a151
	v_pk_add_f32 v[78:79], v[220:221], v[78:79]
	v_mov_b32_e32 v213, v209
	v_pk_add_f32 v[64:65], v[200:201], v[64:65]
	v_mov_b32_e32 v128, v120
	v_mov_b32_e32 v129, v105
	v_accvgpr_read_b32 v246, a150
	v_pk_add_f32 v[64:65], v[212:213], v[64:65]
	v_pk_add_f32 v[180:181], v[128:129], v[78:79]
	v_mov_b32_e32 v105, v121
	v_pk_mul_f32 v[78:79], v[246:247], s[52:53] op_sel:[1,0] op_sel_hi:[0,0]
	v_pk_add_f32 v[182:183], v[104:105], v[64:65]
	v_pk_fma_f32 v[64:65], v[184:185], s[38:39], v[78:79] op_sel_hi:[1,0,1]
	v_pk_fma_f32 v[120:121], v[184:185], s[38:39], v[78:79] op_sel_hi:[1,0,1] neg_lo:[0,0,1] neg_hi:[0,0,1]
	v_mov_b32_e32 v78, v64
	v_mov_b32_e32 v79, v121
	v_accvgpr_mov_b32 a88, a64
	v_pk_add_f32 v[2:3], v[78:79], v[2:3]
	v_accvgpr_read_b32 v78, a128
	v_accvgpr_write_b32 a89, v3
	v_accvgpr_read_b32 v79, a129
	v_accvgpr_write_b32 a88, v2
	v_pk_fma_f32 v[2:3], v[184:185], s[30:31], v[78:79] op_sel_hi:[1,0,1]
	v_pk_fma_f32 v[104:105], v[184:185], s[30:31], v[78:79] op_sel_hi:[1,0,1] neg_lo:[0,0,1] neg_hi:[0,0,1]
	v_mov_b32_e32 v78, v2
	v_mov_b32_e32 v79, v105
	v_pk_add_f32 v[78:79], v[78:79], v[102:103]
	v_accvgpr_read_b32 v201, a149
	v_accvgpr_write_b32 a91, v79
	v_accvgpr_write_b32 a90, v78
	v_accvgpr_read_b32 v78, a140
	v_accvgpr_read_b32 v79, a141
	v_pk_fma_f32 v[128:129], v[184:185], s[62:63], v[78:79] op_sel_hi:[1,0,1]
	v_pk_fma_f32 v[102:103], v[184:185], s[62:63], v[78:79] op_sel_hi:[1,0,1] neg_lo:[0,0,1] neg_hi:[0,0,1]
	v_mov_b32_e32 v78, v128
	v_mov_b32_e32 v79, v103
	v_pk_add_f32 v[50:51], v[78:79], v[50:51]
	v_pk_mul_f32 v[78:79], v[246:247], s[18:19] op_sel:[1,0] op_sel_hi:[0,0]
	v_accvgpr_write_b32 a93, v51
	v_accvgpr_write_b32 a92, v50
	v_pk_fma_f32 v[50:51], v[184:185], s[34:35], v[78:79] op_sel_hi:[1,0,1]
	v_pk_fma_f32 v[78:79], v[184:185], s[34:35], v[78:79] op_sel_hi:[1,0,1] neg_lo:[0,0,1] neg_hi:[0,0,1]
	v_mov_b32_e32 v164, v50
	v_mov_b32_e32 v165, v79
	v_pk_add_f32 v[136:137], v[164:165], v[136:137]
	v_accvgpr_read_b32 v165, a133
	v_accvgpr_write_b32 a94, v136
	v_accvgpr_read_b32 v164, a132
	v_accvgpr_write_b32 a95, v137
	v_pk_fma_f32 v[136:137], v[184:185], s[36:37], v[164:165] op_sel_hi:[1,0,1]
	v_pk_fma_f32 v[164:165], v[184:185], s[36:37], v[164:165] op_sel_hi:[1,0,1] neg_lo:[0,0,1] neg_hi:[0,0,1]
	v_mov_b32_e32 v198, v136
	v_mov_b32_e32 v199, v165
	v_pk_add_f32 v[178:179], v[198:199], v[178:179]
	v_accvgpr_read_b32 v200, a148
	v_accvgpr_write_b32 a96, v178
	v_accvgpr_write_b32 a97, v179
	v_pk_mul_f32 v[178:179], v[238:239], s[10:11] op_sel_hi:[1,0]
	v_pk_mul_f32 v[48:49], v[48:49], s[8:9] op_sel:[1,0] op_sel_hi:[0,0]
	v_accvgpr_read_b32 v209, a137
	v_pk_fma_f32 v[198:199], v[58:59], s[56:57], v[178:179] op_sel:[0,0,1] op_sel_hi:[1,0,0] neg_lo:[0,0,1] neg_hi:[0,0,1]
	v_pk_fma_f32 v[58:59], v[58:59], s[56:57], v[178:179] op_sel:[0,0,1] op_sel_hi:[1,0,0]
	v_pk_fma_f32 v[178:179], v[60:61], s[34:35], v[200:201] op_sel_hi:[1,0,1] neg_lo:[0,0,1] neg_hi:[0,0,1]
	v_pk_fma_f32 v[60:61], v[60:61], s[34:35], v[200:201] op_sel_hi:[1,0,1]
	v_pk_fma_f32 v[200:201], v[130:131], s[38:39], v[48:49] op_sel_hi:[1,0,1] neg_lo:[0,0,1] neg_hi:[0,0,1]
	v_pk_fma_f32 v[48:49], v[130:131], s[38:39], v[48:49] op_sel_hi:[1,0,1]
	v_pk_mul_f32 v[130:131], v[242:243], s[42:43] op_sel:[1,0] op_sel_hi:[0,0]
	v_accvgpr_read_b32 v208, a136
	v_pk_mul_f32 v[162:163], v[162:163], s[46:47]
	v_pk_fma_f32 v[204:205], v[144:145], s[44:45], v[130:131] op_sel_hi:[1,0,1] neg_lo:[0,0,1] neg_hi:[0,0,1]
	v_pk_fma_f32 v[130:131], v[144:145], s[44:45], v[130:131] op_sel_hi:[1,0,1]
	v_pk_fma_f32 v[144:145], v[170:171], s[62:63], v[208:209] op_sel_hi:[1,0,1] neg_lo:[0,0,1] neg_hi:[0,0,1]
	v_pk_fma_f32 v[170:171], v[170:171], s[62:63], v[208:209] op_sel_hi:[1,0,1]
	v_pk_fma_f32 v[208:209], v[148:149], s[28:29], v[162:163] neg_lo:[1,0,0] neg_hi:[1,0,0]
	v_pk_fma_f32 v[212:213], v[148:149], s[28:29], v[162:163]
	v_pk_mul_f32 v[186:187], v[186:187], s[50:51]
	v_pk_fma_f32 v[162:163], v[148:149], s[28:29], v[162:163] neg_lo:[0,0,1] neg_hi:[0,0,1]
	v_mov_b32_e32 v209, v213
	v_pk_fma_f32 v[168:169], v[168:169], s[48:49], v[186:187] op_sel:[1,0,0] neg_lo:[1,0,0] neg_hi:[1,0,0]
	v_pk_fma_f32 v[220:221], v[188:189], s[48:49], v[186:187]
	v_mov_b32_e32 v213, v163
	v_pk_fma_f32 v[162:163], v[188:189], s[48:49], v[186:187] neg_lo:[0,0,1] neg_hi:[0,0,1]
	v_mov_b32_e32 v169, v221
	v_pk_add_f32 v[208:209], v[208:209], v[190:191]
	v_mov_b32_e32 v221, v163
	v_pk_add_f32 v[162:163], v[212:213], v[190:191]
	v_pk_add_f32 v[168:169], v[168:169], v[208:209]
	v_mov_b32_e32 v208, v198
	v_mov_b32_e32 v209, v59
	v_mov_b32_e32 v59, v199
	v_pk_add_f32 v[162:163], v[220:221], v[162:163]
	v_pk_add_f32 v[168:169], v[208:209], v[168:169]
	v_mov_b32_e32 v208, v178
	v_mov_b32_e32 v209, v61
	;; [unrolled: 5-line block ×3, first 2 shown]
	v_mov_b32_e32 v49, v201
	v_pk_add_f32 v[58:59], v[60:61], v[58:59]
	v_pk_add_f32 v[168:169], v[208:209], v[168:169]
	;; [unrolled: 1-line block ×3, first 2 shown]
	v_mov_b32_e32 v58, v204
	v_mov_b32_e32 v59, v131
	;; [unrolled: 1-line block ×5, first 2 shown]
	v_accvgpr_read_b32 v144, a150
	v_pk_add_f32 v[58:59], v[58:59], v[168:169]
	v_mov_b32_e32 v131, v205
	v_accvgpr_read_b32 v145, a151
	v_pk_add_f32 v[48:49], v[130:131], v[48:49]
	v_pk_add_f32 v[130:131], v[60:61], v[58:59]
	v_pk_mul_f32 v[60:61], v[144:145], s[42:43] op_sel:[1,0] op_sel_hi:[0,0]
	v_pk_mul_f32 v[144:145], v[144:145], s[22:23] op_sel:[1,0] op_sel_hi:[0,0]
	v_pk_fma_f32 v[162:163], v[184:185], s[26:27], v[144:145] op_sel_hi:[1,0,1] neg_lo:[0,0,1] neg_hi:[0,0,1]
	v_pk_fma_f32 v[144:145], v[184:185], s[26:27], v[144:145] op_sel_hi:[1,0,1]
	v_mov_b32_e32 v168, v162
	v_mov_b32_e32 v169, v145
	v_pk_add_f32 v[130:131], v[168:169], v[130:131]
	v_pk_add_f32 v[48:49], v[170:171], v[48:49]
	v_accvgpr_write_b32 a100, v130
	v_mov_b32_e32 v145, v163
	v_accvgpr_write_b32 a101, v131
	v_pk_add_f32 v[48:49], v[144:145], v[48:49]
	v_accvgpr_read_b32 v130, a144
	v_accvgpr_write_b32 a99, v49
	v_accvgpr_read_b32 v131, a145
	v_accvgpr_write_b32 a98, v48
	v_mov_b32_e32 v49, v7
	v_mov_b32_e32 v7, v131
	v_pk_add_f32 v[6:7], v[6:7], v[182:183]
	v_accvgpr_read_b32 v232, a104
	v_accvgpr_write_b32 a105, v7
	v_accvgpr_write_b32 a104, v6
	v_accvgpr_read_b32 v6, a108
	v_accvgpr_read_b32 v7, a109
	v_pk_fma_f32 v[6:7], v[40:41], s[14:15], v[6:7] neg_lo:[0,0,1] neg_hi:[0,0,1]
	v_accvgpr_read_b32 v40, a154
	v_accvgpr_read_b32 v6, a106
	;; [unrolled: 1-line block ×3, first 2 shown]
	v_pk_add_f32 v[6:7], v[6:7], v[40:41]
	v_accvgpr_read_b32 v40, a112
	v_accvgpr_read_b32 v41, a113
	v_pk_fma_f32 v[40:41], v[46:47], s[16:17], v[40:41] neg_lo:[0,0,1] neg_hi:[0,0,1]
	v_pk_fma_f32 v[58:59], v[184:185], s[44:45], v[60:61] op_sel_hi:[1,0,1]
	v_accvgpr_read_b32 v40, a110
	v_pk_add_f32 v[6:7], v[40:41], v[6:7]
	v_accvgpr_read_b32 v40, a116
	v_accvgpr_read_b32 v41, a117
	v_pk_fma_f32 v[40:41], v[52:53], s[10:11], v[40:41] neg_lo:[0,0,1] neg_hi:[0,0,1]
	v_pk_fma_f32 v[60:61], v[184:185], s[44:45], v[60:61] op_sel_hi:[1,0,1] neg_lo:[0,0,1] neg_hi:[0,0,1]
	v_accvgpr_read_b32 v40, a114
	v_pk_add_f32 v[6:7], v[40:41], v[6:7]
	v_accvgpr_read_b32 v40, a118
	v_accvgpr_read_b32 v41, a119
	v_pk_fma_f32 v[40:41], v[80:81], s[22:23], v[40:41] neg_lo:[0,0,1] neg_hi:[0,0,1]
	v_mov_b32_e32 v48, v130
	v_mov_b32_e32 v83, v41
	v_accvgpr_read_b32 v40, a120
	v_accvgpr_read_b32 v41, a121
	v_pk_fma_f32 v[40:41], v[86:87], s[18:19], v[40:41] neg_lo:[0,0,1] neg_hi:[0,0,1]
	v_pk_add_f32 v[6:7], v[82:83], v[6:7]
	v_mov_b32_e32 v89, v41
	v_accvgpr_read_b32 v40, a122
	v_accvgpr_read_b32 v41, a123
	v_pk_fma_f32 v[40:41], v[92:93], s[28:29], v[40:41] neg_lo:[0,0,1] neg_hi:[0,0,1]
	v_pk_add_f32 v[6:7], v[88:89], v[6:7]
	v_mov_b32_e32 v95, v41
	v_accvgpr_read_b32 v40, a124
	v_accvgpr_read_b32 v41, a125
	v_pk_fma_f32 v[40:41], v[98:99], s[42:43], v[40:41] neg_lo:[0,0,1] neg_hi:[0,0,1]
	v_accvgpr_read_b32 v88, a126
	v_pk_add_f32 v[6:7], v[94:95], v[6:7]
	v_mov_b32_e32 v101, v41
	v_accvgpr_read_b32 v89, a127
	v_pk_add_f32 v[6:7], v[100:101], v[6:7]
	ds_write_b64 v54, v[6:7] offset:128
	v_lshl_add_u64 v[6:7], v[88:89], 0, 17
	v_mul_u32_u24_e32 v1, 17, v6
	v_mov_b32_e32 v6, v58
	v_mov_b32_e32 v7, v61
	v_pk_add_f32 v[48:49], v[48:49], v[180:181]
	v_pk_add_f32 v[6:7], v[6:7], v[176:177]
	v_accvgpr_write_b32 a103, v49
	v_accvgpr_write_b32 a109, v7
	v_accvgpr_read_b32 v55, a21
	v_accvgpr_write_b32 a102, v48
	v_mov_b32_e32 v144, v54
	v_accvgpr_write_b32 a106, v1
	v_accvgpr_write_b32 a108, v6
	v_accvgpr_mov_b32 a86, a62
	s_and_saveexec_b64 s[26:27], vcc
	s_cbranch_execz .LBB0_7
; %bb.6:
	v_pk_mul_f32 v[82:83], v[148:149], s[10:11]
	v_pk_mul_f32 v[40:41], v[188:189], s[24:25]
	;; [unrolled: 1-line block ×3, first 2 shown]
	v_mov_b32_e32 v71, v85
	v_pk_mul_f32 v[52:53], v[188:189], s[10:11]
	v_pk_mul_f32 v[80:81], v[188:189], s[18:19]
	;; [unrolled: 1-line block ×3, first 2 shown]
	v_mov_b32_e32 v33, v31
	v_pk_add_f32 v[30:31], v[206:207], v[82:83] neg_lo:[0,1] neg_hi:[0,1]
	v_pk_add_f32 v[40:41], v[62:63], v[40:41] neg_lo:[0,1] neg_hi:[0,1]
	v_pk_mul_f32 v[46:47], v[148:149], s[8:9]
	v_pk_mul_f32 v[62:63], v[148:149], s[16:17]
	v_mov_b32_e32 v155, v45
	v_mov_b32_e32 v31, v21
	v_pk_add_f32 v[20:21], v[210:211], v[84:85] neg_lo:[0,1] neg_hi:[0,1]
	v_pk_add_f32 v[44:45], v[158:159], v[80:81] neg_lo:[0,1] neg_hi:[0,1]
	;; [unrolled: 1-line block ×4, first 2 shown]
	v_accvgpr_read_b32 v83, a69
	v_mov_b32_e32 v21, v25
	v_pk_add_f32 v[24:25], v[152:153], v[62:63] neg_lo:[0,1] neg_hi:[0,1]
	v_mov_b32_e32 v62, v10
	v_mov_b32_e32 v49, v11
	v_pk_add_f32 v[10:11], v[118:119], v[46:47] neg_lo:[0,1] neg_hi:[0,1]
	v_pk_add_f32 v[46:47], v[192:193], v[190:191]
	v_accvgpr_read_b32 v81, a67
	v_accvgpr_read_b32 v80, a66
	;; [unrolled: 1-line block ×3, first 2 shown]
	v_pk_add_f32 v[46:47], v[80:81], v[46:47]
	v_accvgpr_read_b32 v11, a107
	v_pk_add_f32 v[46:47], v[82:83], v[46:47]
	v_accvgpr_read_b32 v83, a61
	v_accvgpr_read_b32 v81, a59
	;; [unrolled: 1-line block ×4, first 2 shown]
	v_pk_add_f32 v[46:47], v[80:81], v[46:47]
	v_mov_b32_e32 v63, v107
	v_pk_add_f32 v[46:47], v[82:83], v[46:47]
	v_accvgpr_read_b32 v83, a53
	v_accvgpr_read_b32 v81, a51
	;; [unrolled: 1-line block ×4, first 2 shown]
	v_pk_add_f32 v[46:47], v[80:81], v[46:47]
	v_pk_add_f32 v[10:11], v[10:11], v[190:191]
	;; [unrolled: 1-line block ×3, first 2 shown]
	v_accvgpr_read_b32 v83, a49
	v_accvgpr_read_b32 v81, a47
	;; [unrolled: 1-line block ×4, first 2 shown]
	v_pk_add_f32 v[46:47], v[80:81], v[46:47]
	v_accvgpr_read_b32 v107, a71
	v_pk_add_f32 v[46:47], v[82:83], v[46:47]
	v_accvgpr_read_b32 v83, a57
	v_accvgpr_read_b32 v81, a55
	;; [unrolled: 1-line block ×4, first 2 shown]
	v_pk_add_f32 v[46:47], v[80:81], v[46:47]
	v_pk_add_f32 v[10:11], v[106:107], v[10:11]
	;; [unrolled: 1-line block ×3, first 2 shown]
	v_accvgpr_read_b32 v83, a65
	v_accvgpr_read_b32 v81, a63
	;; [unrolled: 1-line block ×3, first 2 shown]
	v_mov_b32_e32 v135, v133
	v_accvgpr_read_b32 v82, a64
	v_pk_add_f32 v[46:47], v[80:81], v[46:47]
	v_pk_add_f32 v[10:11], v[134:135], v[10:11]
	v_mov_b32_e32 v203, v15
	v_pk_add_f32 v[46:47], v[82:83], v[46:47]
	v_accvgpr_read_b32 v83, a75
	v_pk_add_f32 v[10:11], v[202:203], v[10:11]
	v_mov_b32_e32 v227, v29
	v_accvgpr_read_b32 v81, a73
	v_accvgpr_read_b32 v80, a72
	v_pk_add_f32 v[10:11], v[226:227], v[10:11]
	v_mov_b32_e32 v251, v249
	v_accvgpr_read_b32 v82, a74
	v_pk_add_f32 v[46:47], v[80:81], v[46:47]
	v_pk_add_f32 v[10:11], v[250:251], v[10:11]
	v_mov_b32_e32 v167, v35
	v_accvgpr_read_b32 v2, a106
	v_pk_add_f32 v[46:47], v[82:83], v[46:47]
	v_pk_add_f32 v[10:11], v[166:167], v[10:11]
	v_mov_b32_e32 v61, v59
	v_mov_b32_e32 v25, v151
	v_accvgpr_read_b32 v19, a115
	v_lshl_add_u32 v14, v2, 3, v55
	v_pk_add_f32 v[46:47], v[228:229], v[46:47]
	v_pk_add_f32 v[10:11], v[60:61], v[10:11]
	v_mov_b32_e32 v45, v157
	ds_write2_b64 v14, v[46:47], v[10:11] offset1:1
	v_pk_add_f32 v[10:11], v[18:19], v[190:191]
	v_mov_b32_e32 v147, v13
	v_pk_add_f32 v[12:13], v[24:25], v[190:191]
	v_pk_add_f32 v[10:11], v[48:49], v[10:11]
	v_accvgpr_read_b32 v123, a111
	v_pk_add_f32 v[12:13], v[44:45], v[12:13]
	v_pk_add_f32 v[10:11], v[122:123], v[10:11]
	;; [unrolled: 1-line block ×3, first 2 shown]
	v_accvgpr_read_b32 v127, a87
	v_pk_add_f32 v[10:11], v[146:147], v[10:11]
	v_mov_b32_e32 v217, v139
	v_pk_add_f32 v[12:13], v[126:127], v[12:13]
	v_mov_b32_e32 v195, v9
	v_pk_mul_f32 v[6:7], v[148:149], s[18:19]
	v_pk_add_f32 v[10:11], v[216:217], v[10:11]
	v_mov_b32_e32 v241, v43
	v_pk_add_f32 v[8:9], v[194:195], v[12:13]
	v_mov_b32_e32 v175, v5
	v_pk_add_f32 v[6:7], v[66:67], v[6:7] neg_lo:[0,1] neg_hi:[0,1]
	v_pk_mul_f32 v[66:67], v[148:149], s[22:23]
	v_pk_add_f32 v[10:11], v[240:241], v[10:11]
	v_mov_b32_e32 v255, v253
	v_pk_add_f32 v[4:5], v[174:175], v[8:9]
	v_mov_b32_e32 v245, v17
	v_pk_add_f32 v[66:67], v[230:231], v[66:67] neg_lo:[0,1] neg_hi:[0,1]
	v_pk_mul_f32 v[86:87], v[188:189], s[20:21]
	v_pk_add_f32 v[10:11], v[254:255], v[10:11]
	v_mov_b32_e32 v121, v65
	v_pk_add_f32 v[4:5], v[244:245], v[4:5]
	v_mov_b32_e32 v105, v3
	v_mov_b32_e32 v67, v223
	v_pk_add_f32 v[38:39], v[38:39], v[86:87] neg_lo:[0,1] neg_hi:[0,1]
	v_pk_add_f32 v[10:11], v[120:121], v[10:11]
	v_pk_add_f32 v[2:3], v[104:105], v[4:5]
	v_mov_b32_e32 v39, v219
	ds_write2_b64 v14, v[10:11], v[2:3] offset0:2 offset1:3
	v_pk_add_f32 v[2:3], v[30:31], v[190:191]
	v_pk_add_f32 v[4:5], v[66:67], v[190:191]
	v_mov_b32_e32 v233, v237
	v_pk_add_f32 v[2:3], v[20:21], v[2:3]
	v_pk_add_f32 v[4:5], v[38:39], v[4:5]
	v_mov_b32_e32 v109, v225
	v_mov_b32_e32 v115, v125
	v_pk_add_f32 v[2:3], v[232:233], v[2:3]
	v_pk_add_f32 v[4:5], v[32:33], v[4:5]
	;; [unrolled: 1-line block ×3, first 2 shown]
	v_mov_b32_e32 v75, v73
	v_pk_add_f32 v[4:5], v[108:109], v[4:5]
	v_pk_add_f32 v[2:3], v[74:75], v[2:3]
	v_mov_b32_e32 v215, v57
	v_pk_add_f32 v[4:5], v[154:155], v[4:5]
	v_mov_b32_e32 v117, v27
	;; [unrolled: 2-line block ×6, first 2 shown]
	v_mov_b32_e32 v7, v97
	v_pk_add_f32 v[2:3], v[102:103], v[2:3]
	v_pk_add_f32 v[4:5], v[78:79], v[4:5]
	v_mov_b32_e32 v41, v173
	ds_write2_b64 v14, v[2:3], v[4:5] offset0:4 offset1:5
	v_pk_add_f32 v[2:3], v[6:7], v[190:191]
	v_mov_b32_e32 v1, v91
	v_pk_add_f32 v[2:3], v[40:41], v[2:3]
	v_mov_b32_e32 v143, v111
	;; [unrolled: 2-line block ×5, first 2 shown]
	v_pk_add_f32 v[0:1], v[76:77], v[0:1]
	v_accvgpr_read_b32 v2, a100
	v_pk_add_f32 v[0:1], v[160:161], v[0:1]
	v_accvgpr_read_b32 v3, a101
	v_pk_add_f32 v[0:1], v[164:165], v[0:1]
	ds_write2_b64 v14, v[0:1], v[2:3] offset0:6 offset1:7
	v_accvgpr_read_b32 v0, a102
	v_accvgpr_read_b32 v2, a104
	v_accvgpr_read_b32 v1, a103
	v_accvgpr_read_b32 v3, a105
	ds_write2_b64 v14, v[0:1], v[2:3] offset0:8 offset1:9
	v_accvgpr_read_b32 v0, a96
	v_accvgpr_read_b32 v2, a98
	v_accvgpr_read_b32 v1, a97
	v_accvgpr_read_b32 v3, a99
	;; [unrolled: 5-line block ×4, first 2 shown]
	ds_write2_b64 v14, v[2:3], v[0:1] offset0:14 offset1:15
	ds_write_b64 v14, a[108:109] offset:128
.LBB0_7:
	s_or_b64 exec, exec, s[26:27]
	s_movk_i32 s9, 0xf1
	v_add_u16_e32 v6, 0x77, v88
	v_mul_lo_u16_sdwa v8, v6, s9 dst_sel:DWORD dst_unused:UNUSED_PAD src0_sel:BYTE_0 src1_sel:DWORD
	v_lshrrev_b16_e32 v8, 12, v8
	v_lshlrev_b32_e32 v0, 4, v88
	v_mul_lo_u16_e32 v8, 17, v8
	s_waitcnt lgkmcnt(0)
	; wave barrier
	s_waitcnt lgkmcnt(0)
	global_load_dwordx4 v[0:3], v0, s[0:1]
	v_sub_u16_e32 v6, v6, v8
	v_lshlrev_b16_e32 v8, 1, v6
	v_and_b32_e32 v8, 0xfe, v8
	v_add_u16_e32 v5, 0x66, v88
	v_lshlrev_b32_e32 v8, 3, v8
	v_add_u16_e32 v4, 0x55, v88
	global_load_dwordx4 v[70:73], v8, s[0:1]
	v_mul_lo_u16_sdwa v8, v5, s9 dst_sel:DWORD dst_unused:UNUSED_PAD src0_sel:BYTE_0 src1_sel:DWORD
	v_mul_lo_u16_sdwa v7, v4, s9 dst_sel:DWORD dst_unused:UNUSED_PAD src0_sel:BYTE_0 src1_sel:DWORD
	v_lshrrev_b16_e32 v8, 12, v8
	v_lshrrev_b16_e32 v7, 12, v7
	v_mul_lo_u16_e32 v8, 17, v8
	v_mul_lo_u16_e32 v7, 17, v7
	v_sub_u16_e32 v5, v5, v8
	v_sub_u16_e32 v4, v4, v7
	v_lshlrev_b16_e32 v7, 1, v5
	v_and_b32_e32 v7, 0xfe, v7
	v_lshlrev_b32_e32 v7, 3, v7
	global_load_dwordx4 v[56:59], v7, s[0:1]
	v_lshlrev_b16_e32 v7, 1, v4
	v_and_b32_e32 v7, 0xfe, v7
	v_add_u16_e32 v8, 51, v88
	v_lshlrev_b32_e32 v7, 3, v7
	v_add_u16_e32 v9, 0x44, v88
	v_mul_lo_u16_sdwa v10, v8, s9 dst_sel:DWORD dst_unused:UNUSED_PAD src0_sel:BYTE_0 src1_sel:DWORD
	global_load_dwordx4 v[14:17], v7, s[0:1]
	v_mul_lo_u16_sdwa v11, v9, s9 dst_sel:DWORD dst_unused:UNUSED_PAD src0_sel:BYTE_0 src1_sel:DWORD
	v_lshrrev_b16_e32 v10, 12, v10
	v_lshrrev_b16_e32 v11, 12, v11
	v_mul_lo_u16_e32 v10, 17, v10
	v_mul_lo_u16_e32 v11, 17, v11
	v_sub_u16_e32 v8, v8, v10
	v_sub_u16_e32 v9, v9, v11
	v_lshlrev_b16_e32 v10, 1, v8
	v_lshlrev_b16_e32 v11, 1, v9
	v_and_b32_e32 v10, 0xfe, v10
	v_accvgpr_read_b32 v18, a2
	v_and_b32_e32 v11, 0xfe, v11
	v_lshlrev_b32_e32 v10, 3, v10
	ds_read2_b64 v[28:31], v18 offset1:17
	ds_read2_b64 v[32:35], v18 offset0:136 offset1:153
	v_lshlrev_b32_e32 v11, 3, v11
	global_load_dwordx4 v[20:23], v10, s[0:1]
	global_load_dwordx4 v[146:149], v11, s[0:1]
	v_add_u16_e32 v7, 34, v88
	v_mul_lo_u16_sdwa v10, v7, s9 dst_sel:DWORD dst_unused:UNUSED_PAD src0_sel:BYTE_0 src1_sel:DWORD
	v_lshrrev_b16_e32 v10, 12, v10
	v_mul_lo_u16_e32 v10, 17, v10
	v_sub_u16_e32 v7, v7, v10
	v_lshlrev_b16_e32 v10, 1, v7
	v_and_b32_e32 v7, 0xff, v7
	v_and_b32_e32 v10, 0xfe, v10
	v_lshl_add_u32 v12, v7, 3, v55
	v_lshlrev_b32_e32 v7, 3, v10
	global_load_dwordx4 v[24:27], v7, s[0:1]
	v_add_u32_e32 v66, 0x800, v18
	ds_read2_b64 v[36:39], v66 offset0:16 offset1:33
	s_mov_b32 s8, 0x3f5db3d7
	v_and_b32_e32 v8, 0xff, v8
	v_and_b32_e32 v9, 0xff, v9
	;; [unrolled: 1-line block ×3, first 2 shown]
	v_lshl_add_u32 v11, v8, 3, v55
	v_lshl_add_u32 v8, v9, 3, v55
	v_lshl_add_u32 v9, v4, 3, v55
	v_and_b32_e32 v4, 0xff, v5
	v_lshl_add_u32 v7, v4, 3, v55
	v_and_b32_e32 v4, 0xff, v6
	v_lshl_add_u32 v5, v4, 3, v55
	v_mov_b32_e32 v6, v88
	v_add_u32_e32 v4, 0x400, v9
	v_accvgpr_write_b32 a51, v12
	v_accvgpr_write_b32 a49, v11
	v_accvgpr_write_b32 a48, v8
	v_accvgpr_write_b32 a50, v9
	v_accvgpr_write_b32 a46, v5
	v_accvgpr_write_b32 a47, v7
	s_waitcnt vmcnt(6) lgkmcnt(1)
	v_pk_mul_f32 v[40:41], v[32:33], v[0:1] op_sel:[0,1]
	v_mov_b32_e32 v60, v3
	v_pk_fma_f32 v[42:43], v[32:33], v[0:1], v[40:41] op_sel:[0,0,1] op_sel_hi:[1,1,0] neg_lo:[0,0,1] neg_hi:[0,0,1]
	v_pk_fma_f32 v[32:33], v[32:33], v[0:1], v[40:41] op_sel:[0,0,1] op_sel_hi:[1,0,0]
	s_waitcnt lgkmcnt(0)
	v_pk_mul_f32 v[40:41], v[36:37], v[60:61] op_sel_hi:[1,0]
	v_mov_b32_e32 v43, v33
	v_pk_fma_f32 v[32:33], v[36:37], v[2:3], v[40:41] op_sel:[0,0,1] op_sel_hi:[1,1,0] neg_lo:[0,0,1] neg_hi:[0,0,1]
	v_pk_fma_f32 v[36:37], v[36:37], v[2:3], v[40:41] op_sel:[0,0,1] op_sel_hi:[1,0,0]
	s_waitcnt vmcnt(5)
	v_accvgpr_write_b32 a68, v70
	v_mov_b32_e32 v33, v37
	v_pk_add_f32 v[36:37], v[28:29], v[42:43]
	v_pk_add_f32 v[40:41], v[42:43], v[32:33]
	v_pk_add_f32 v[42:43], v[42:43], v[32:33] neg_lo:[0,1] neg_hi:[0,1]
	v_pk_add_f32 v[32:33], v[36:37], v[32:33]
	v_pk_fma_f32 v[28:29], v[40:41], 0.5, v[28:29] op_sel_hi:[1,0,1] neg_lo:[1,0,0] neg_hi:[1,0,0]
	v_pk_mul_f32 v[36:37], v[42:43], s[8:9] op_sel_hi:[1,0]
	ds_read2_b64 v[40:43], v18 offset0:238 offset1:255
	ds_read2_b64 v[44:47], v18 offset0:102 offset1:119
	;; [unrolled: 1-line block ×3, first 2 shown]
	v_pk_add_f32 v[62:63], v[28:29], v[36:37] op_sel:[0,1] op_sel_hi:[1,0]
	v_pk_add_f32 v[28:29], v[28:29], v[36:37] op_sel:[0,1] op_sel_hi:[1,0] neg_lo:[0,1] neg_hi:[0,1]
	v_accvgpr_write_b32 a69, v71
	s_waitcnt lgkmcnt(2)
	v_pk_mul_f32 v[36:37], v[42:43], v[70:71] op_sel:[0,1]
	v_accvgpr_write_b32 a70, v72
	v_pk_fma_f32 v[64:65], v[42:43], v[70:71], v[36:37] op_sel:[0,0,1] op_sel_hi:[1,1,0] neg_lo:[0,0,1] neg_hi:[0,0,1]
	v_pk_fma_f32 v[36:37], v[42:43], v[70:71], v[36:37] op_sel:[0,0,1] op_sel_hi:[1,0,0]
	s_waitcnt vmcnt(4)
	v_pk_mul_f32 v[42:43], v[40:41], v[56:57] op_sel:[0,1]
	v_accvgpr_write_b32 a71, v73
	v_pk_fma_f32 v[70:71], v[40:41], v[56:57], v[42:43] op_sel:[0,0,1] op_sel_hi:[1,1,0] neg_lo:[0,0,1] neg_hi:[0,0,1]
	v_pk_fma_f32 v[40:41], v[40:41], v[56:57], v[42:43] op_sel:[0,0,1] op_sel_hi:[1,0,0]
	v_mov_b32_e32 v36, v73
	v_mov_b32_e32 v40, v59
	;; [unrolled: 1-line block ×3, first 2 shown]
	s_waitcnt lgkmcnt(0)
	v_pk_mul_f32 v[36:37], v[50:51], v[36:37] op_sel_hi:[1,0]
	v_mov_b32_e32 v71, v41
	v_pk_mul_f32 v[40:41], v[48:49], v[40:41] op_sel_hi:[1,0]
	v_pk_fma_f32 v[68:69], v[50:51], v[72:73], v[36:37] op_sel:[0,0,1] op_sel_hi:[1,1,0] neg_lo:[0,0,1] neg_hi:[0,0,1]
	v_pk_fma_f32 v[36:37], v[50:51], v[72:73], v[36:37] op_sel:[0,0,1] op_sel_hi:[1,0,0]
	v_pk_fma_f32 v[72:73], v[48:49], v[58:59], v[40:41] op_sel:[0,0,1] op_sel_hi:[1,1,0] neg_lo:[0,0,1] neg_hi:[0,0,1]
	v_pk_fma_f32 v[40:41], v[48:49], v[58:59], v[40:41] op_sel:[0,0,1] op_sel_hi:[1,0,0]
	v_pk_add_f32 v[48:49], v[44:45], v[70:71]
	v_mov_b32_e32 v73, v41
	ds_read2_b64 v[40:43], v18 offset0:204 offset1:221
	v_pk_add_f32 v[74:75], v[48:49], v[72:73]
	ds_read2_b64 v[48:51], v18 offset0:68 offset1:85
	ds_read2_b64 v[52:55], v66 offset0:84 offset1:101
	v_accvgpr_write_b32 a67, v59
	v_accvgpr_write_b32 a66, v58
	;; [unrolled: 1-line block ×4, first 2 shown]
	s_waitcnt vmcnt(3) lgkmcnt(2)
	v_pk_mul_f32 v[56:57], v[42:43], v[14:15] op_sel:[0,1]
	v_mov_b32_e32 v69, v37
	v_pk_fma_f32 v[76:77], v[42:43], v[14:15], v[56:57] op_sel:[0,0,1] op_sel_hi:[1,1,0] neg_lo:[0,0,1] neg_hi:[0,0,1]
	v_pk_fma_f32 v[42:43], v[42:43], v[14:15], v[56:57] op_sel:[0,0,1] op_sel_hi:[1,0,0]
	v_pk_add_f32 v[36:37], v[46:47], v[64:65]
	v_mov_b32_e32 v42, v17
	v_mov_b32_e32 v77, v43
	s_waitcnt lgkmcnt(0)
	v_pk_mul_f32 v[42:43], v[54:55], v[42:43] op_sel_hi:[1,0]
	v_pk_add_f32 v[36:37], v[36:37], v[68:69]
	v_pk_fma_f32 v[78:79], v[54:55], v[16:17], v[42:43] op_sel:[0,0,1] op_sel_hi:[1,1,0] neg_lo:[0,0,1] neg_hi:[0,0,1]
	v_pk_fma_f32 v[42:43], v[54:55], v[16:17], v[42:43] op_sel:[0,0,1] op_sel_hi:[1,0,0]
	v_accvgpr_write_b32 a59, v17
	v_mov_b32_e32 v79, v43
	v_pk_add_f32 v[42:43], v[50:51], v[76:77]
	v_accvgpr_write_b32 a58, v16
	v_pk_add_f32 v[80:81], v[42:43], v[78:79]
	s_waitcnt vmcnt(1)
	v_pk_mul_f32 v[42:43], v[40:41], v[146:147] op_sel:[0,1]
	v_accvgpr_write_b32 a57, v15
	v_pk_fma_f32 v[82:83], v[40:41], v[146:147], v[42:43] op_sel:[0,0,1] op_sel_hi:[1,1,0] neg_lo:[0,0,1] neg_hi:[0,0,1]
	v_pk_fma_f32 v[40:41], v[40:41], v[146:147], v[42:43] op_sel:[0,0,1] op_sel_hi:[1,0,0]
	v_accvgpr_write_b32 a56, v14
	v_mov_b32_e32 v40, v149
	v_mov_b32_e32 v83, v41
	v_pk_mul_f32 v[40:41], v[52:53], v[40:41] op_sel_hi:[1,0]
	s_nop 0
	v_pk_fma_f32 v[84:85], v[52:53], v[148:149], v[40:41] op_sel:[0,0,1] op_sel_hi:[1,1,0] neg_lo:[0,0,1] neg_hi:[0,0,1]
	v_pk_fma_f32 v[40:41], v[52:53], v[148:149], v[40:41] op_sel:[0,0,1] op_sel_hi:[1,0,0]
	s_nop 0
	v_mov_b32_e32 v85, v41
	v_pk_add_f32 v[40:41], v[82:83], v[84:85]
	s_nop 0
	v_pk_fma_f32 v[52:53], v[40:41], 0.5, v[48:49] op_sel_hi:[1,0,1] neg_lo:[1,0,0] neg_hi:[1,0,0]
	v_pk_add_f32 v[40:41], v[82:83], v[84:85] neg_lo:[0,1] neg_hi:[0,1]
	s_nop 0
	v_pk_mul_f32 v[54:55], v[40:41], s[8:9] op_sel_hi:[1,0]
	ds_read2_b64 v[40:43], v18 offset0:170 offset1:187
	v_pk_add_f32 v[86:87], v[52:53], v[54:55] op_sel:[0,1] op_sel_hi:[1,0] neg_lo:[0,1] neg_hi:[0,1]
	v_pk_add_f32 v[88:89], v[52:53], v[54:55] op_sel:[0,1] op_sel_hi:[1,0]
	ds_read2_b64 v[52:55], v18 offset0:34 offset1:51
	ds_read2_b64 v[56:59], v66 offset0:50 offset1:67
	s_waitcnt lgkmcnt(0)
	v_pk_mul_f32 v[90:91], v[42:43], v[20:21] op_sel:[0,1]
	; wave barrier
	s_nop 0
	v_pk_fma_f32 v[92:93], v[42:43], v[20:21], v[90:91] op_sel:[0,0,1] op_sel_hi:[1,1,0] neg_lo:[0,0,1] neg_hi:[0,0,1]
	v_pk_fma_f32 v[42:43], v[42:43], v[20:21], v[90:91] op_sel:[0,0,1] op_sel_hi:[1,0,0]
	s_nop 0
	v_mov_b32_e32 v42, v23
	v_mov_b32_e32 v93, v43
	v_pk_mul_f32 v[42:43], v[58:59], v[42:43] op_sel_hi:[1,0]
	s_nop 0
	v_pk_fma_f32 v[90:91], v[58:59], v[22:23], v[42:43] op_sel:[0,0,1] op_sel_hi:[1,1,0] neg_lo:[0,0,1] neg_hi:[0,0,1]
	v_pk_fma_f32 v[42:43], v[58:59], v[22:23], v[42:43] op_sel:[0,0,1] op_sel_hi:[1,0,0]
	s_nop 0
	v_mov_b32_e32 v91, v43
	v_pk_add_f32 v[42:43], v[92:93], v[90:91]
	v_pk_add_f32 v[58:59], v[92:93], v[90:91] neg_lo:[0,1] neg_hi:[0,1]
	v_pk_fma_f32 v[42:43], v[42:43], 0.5, v[54:55] op_sel_hi:[1,0,1] neg_lo:[1,0,0] neg_hi:[1,0,0]
	v_pk_mul_f32 v[58:59], v[58:59], s[8:9] op_sel_hi:[1,0]
	s_nop 0
	v_pk_add_f32 v[94:95], v[42:43], v[58:59] op_sel:[0,1] op_sel_hi:[1,0] neg_lo:[0,1] neg_hi:[0,1]
	v_pk_add_f32 v[42:43], v[42:43], v[58:59] op_sel:[0,1] op_sel_hi:[1,0]
	s_waitcnt vmcnt(0)
	v_pk_mul_f32 v[58:59], v[40:41], v[24:25] op_sel:[0,1]
	s_nop 0
	v_pk_fma_f32 v[96:97], v[40:41], v[24:25], v[58:59] op_sel:[0,0,1] op_sel_hi:[1,1,0] neg_lo:[0,0,1] neg_hi:[0,0,1]
	v_pk_fma_f32 v[40:41], v[40:41], v[24:25], v[58:59] op_sel:[0,0,1] op_sel_hi:[1,0,0]
	s_nop 0
	v_mov_b32_e32 v40, v27
	v_mov_b32_e32 v97, v41
	v_pk_mul_f32 v[40:41], v[56:57], v[40:41] op_sel_hi:[1,0]
	s_nop 0
	v_pk_fma_f32 v[58:59], v[56:57], v[26:27], v[40:41] op_sel:[0,0,1] op_sel_hi:[1,1,0] neg_lo:[0,0,1] neg_hi:[0,0,1]
	v_pk_fma_f32 v[40:41], v[56:57], v[26:27], v[40:41] op_sel:[0,0,1] op_sel_hi:[1,0,0]
	s_nop 0
	v_mov_b32_e32 v59, v41
	v_pk_add_f32 v[40:41], v[96:97], v[58:59]
	v_pk_add_f32 v[56:57], v[96:97], v[58:59] neg_lo:[0,1] neg_hi:[0,1]
	v_pk_fma_f32 v[40:41], v[40:41], 0.5, v[52:53] op_sel_hi:[1,0,1] neg_lo:[1,0,0] neg_hi:[1,0,0]
	v_pk_mul_f32 v[56:57], v[56:57], s[8:9] op_sel_hi:[1,0]
	s_nop 0
	v_pk_add_f32 v[98:99], v[40:41], v[56:57] op_sel:[0,1] op_sel_hi:[1,0] neg_lo:[0,1] neg_hi:[0,1]
	v_pk_add_f32 v[40:41], v[40:41], v[56:57] op_sel:[0,1] op_sel_hi:[1,0]
	v_pk_mul_f32 v[56:57], v[34:35], v[0:1] op_sel:[0,1]
	s_nop 0
	v_pk_fma_f32 v[100:101], v[34:35], v[0:1], v[56:57] op_sel:[0,0,1] op_sel_hi:[1,1,0] neg_lo:[0,0,1] neg_hi:[0,0,1]
	v_pk_fma_f32 v[34:35], v[34:35], v[0:1], v[56:57] op_sel:[0,0,1] op_sel_hi:[1,0,0]
	s_nop 0
	v_mov_b32_e32 v101, v35
	v_pk_mul_f32 v[34:35], v[38:39], v[60:61] op_sel_hi:[1,0]
	s_nop 0
	v_pk_fma_f32 v[56:57], v[38:39], v[2:3], v[34:35] op_sel:[0,0,1] op_sel_hi:[1,1,0] neg_lo:[0,0,1] neg_hi:[0,0,1]
	v_pk_fma_f32 v[34:35], v[38:39], v[2:3], v[34:35] op_sel:[0,0,1] op_sel_hi:[1,0,0]
	s_nop 0
	v_mov_b32_e32 v57, v35
	v_pk_add_f32 v[34:35], v[100:101], v[56:57]
	v_pk_add_f32 v[38:39], v[100:101], v[56:57] neg_lo:[0,1] neg_hi:[0,1]
	v_pk_fma_f32 v[34:35], v[34:35], 0.5, v[30:31] op_sel_hi:[1,0,1] neg_lo:[1,0,0] neg_hi:[1,0,0]
	v_pk_mul_f32 v[38:39], v[38:39], s[8:9] op_sel_hi:[1,0]
	v_pk_add_f32 v[30:31], v[30:31], v[100:101]
	v_pk_add_f32 v[60:61], v[34:35], v[38:39] op_sel:[0,1] op_sel_hi:[1,0] neg_lo:[0,1] neg_hi:[0,1]
	v_pk_add_f32 v[34:35], v[34:35], v[38:39] op_sel:[0,1] op_sel_hi:[1,0]
	v_mov_b32_e32 v39, v29
	v_mov_b32_e32 v29, v63
	v_pk_add_f32 v[30:31], v[30:31], v[56:57]
	ds_write2_b64 v18, v[28:29], v[30:31] offset0:34 offset1:51
	v_mov_b32_e32 v28, v34
	v_mov_b32_e32 v29, v61
	;; [unrolled: 1-line block ×3, first 2 shown]
	ds_write2_b64 v18, v[28:29], v[60:61] offset0:68 offset1:85
	v_pk_add_f32 v[28:29], v[52:53], v[96:97]
	v_mov_b32_e32 v38, v62
	v_pk_add_f32 v[28:29], v[28:29], v[58:59]
	v_mov_b32_e32 v30, v40
	v_mov_b32_e32 v31, v99
	ds_write2_b64 v18, v[32:33], v[38:39] offset1:17
	ds_write2_b64 v12, v[28:29], v[30:31] offset0:102 offset1:119
	v_pk_add_f32 v[28:29], v[54:55], v[92:93]
	v_mov_b32_e32 v30, v42
	v_pk_add_f32 v[28:29], v[28:29], v[90:91]
	v_mov_b32_e32 v31, v95
	ds_write2_b64 v11, v[28:29], v[30:31] offset0:153 offset1:170
	v_pk_add_f32 v[28:29], v[48:49], v[82:83]
	v_mov_b32_e32 v30, v88
	v_pk_add_f32 v[28:29], v[28:29], v[84:85]
	v_mov_b32_e32 v31, v87
	ds_write2_b64 v8, v[28:29], v[30:31] offset0:204 offset1:221
	v_pk_add_f32 v[28:29], v[76:77], v[78:79]
	v_pk_add_f32 v[30:31], v[76:77], v[78:79] neg_lo:[0,1] neg_hi:[0,1]
	v_pk_fma_f32 v[28:29], v[28:29], 0.5, v[50:51] op_sel_hi:[1,0,1] neg_lo:[1,0,0] neg_hi:[1,0,0]
	v_pk_mul_f32 v[30:31], v[30:31], s[8:9] op_sel_hi:[1,0]
	v_mov_b32_e32 v99, v41
	v_pk_add_f32 v[32:33], v[28:29], v[30:31] op_sel:[0,1] op_sel_hi:[1,0]
	v_pk_add_f32 v[28:29], v[28:29], v[30:31] op_sel:[0,1] op_sel_hi:[1,0] neg_lo:[0,1] neg_hi:[0,1]
	v_mov_b32_e32 v30, v32
	v_mov_b32_e32 v31, v29
	;; [unrolled: 1-line block ×3, first 2 shown]
	ds_write2_b64 v4, v[80:81], v[30:31] offset0:127 offset1:144
	ds_write_b64 v9, v[28:29] offset:2312
	v_pk_add_f32 v[28:29], v[70:71], v[72:73]
	v_pk_add_f32 v[30:31], v[70:71], v[72:73] neg_lo:[0,1] neg_hi:[0,1]
	v_pk_fma_f32 v[28:29], v[28:29], 0.5, v[44:45] op_sel_hi:[1,0,1] neg_lo:[1,0,0] neg_hi:[1,0,0]
	v_pk_mul_f32 v[30:31], v[30:31], s[8:9] op_sel_hi:[1,0]
	v_add_u32_e32 v4, 0x800, v7
	v_pk_add_f32 v[32:33], v[28:29], v[30:31] op_sel:[0,1] op_sel_hi:[1,0]
	v_pk_add_f32 v[28:29], v[28:29], v[30:31] op_sel:[0,1] op_sel_hi:[1,0] neg_lo:[0,1] neg_hi:[0,1]
	v_mov_b32_e32 v30, v32
	v_mov_b32_e32 v31, v29
	;; [unrolled: 1-line block ×3, first 2 shown]
	ds_write2_b64 v4, v[74:75], v[30:31] offset0:50 offset1:67
	ds_write_b64 v7, v[28:29] offset:2720
	v_pk_add_f32 v[28:29], v[64:65], v[68:69]
	v_pk_add_f32 v[30:31], v[64:65], v[68:69] neg_lo:[0,1] neg_hi:[0,1]
	v_pk_fma_f32 v[28:29], v[28:29], 0.5, v[46:47] op_sel_hi:[1,0,1] neg_lo:[1,0,0] neg_hi:[1,0,0]
	v_pk_mul_f32 v[30:31], v[30:31], s[8:9] op_sel_hi:[1,0]
	v_mov_b32_e32 v95, v43
	v_pk_add_f32 v[32:33], v[28:29], v[30:31] op_sel:[0,1] op_sel_hi:[1,0]
	v_pk_add_f32 v[28:29], v[28:29], v[30:31] op_sel:[0,1] op_sel_hi:[1,0] neg_lo:[0,1] neg_hi:[0,1]
	v_mov_b32_e32 v87, v89
	v_mov_b32_e32 v30, v32
	;; [unrolled: 1-line block ×3, first 2 shown]
	v_add_u32_e32 v4, 0x800, v5
	v_mov_b32_e32 v29, v33
	v_mad_u64_u32 v[48:49], s[0:1], v6, 56, s[0:1]
	ds_write_b64 v12, v[98:99] offset:1088
	ds_write_b64 v11, v[94:95] offset:1496
	;; [unrolled: 1-line block ×3, first 2 shown]
	ds_write2_b64 v4, v[36:37], v[30:31] offset0:101 offset1:118
	ds_write_b64 v5, v[28:29] offset:3128
	s_waitcnt lgkmcnt(0)
	; wave barrier
	s_waitcnt lgkmcnt(0)
	global_load_dwordx4 v[28:31], v[48:49], off offset:2176
	global_load_dwordx4 v[12:15], v[48:49], off offset:2192
	;; [unrolled: 1-line block ×3, first 2 shown]
	global_load_dwordx2 v[4:5], v[48:49], off offset:2224
	global_load_dwordx2 v[32:33], v[48:49], off offset:320
	global_load_dwordx4 v[52:55], v[48:49], off offset:304
	global_load_dwordx4 v[56:59], v[48:49], off offset:288
	;; [unrolled: 1-line block ×3, first 2 shown]
	global_load_dwordx2 v[16:17], v[48:49], off offset:1272
	global_load_dwordx4 v[40:43], v[48:49], off offset:1256
	ds_read2_b64 v[68:71], v18 offset0:68 offset1:85
	global_load_dwordx4 v[44:47], v[48:49], off offset:1240
	s_nop 0
	global_load_dwordx4 v[48:51], v[48:49], off offset:1224
	ds_read2_b64 v[76:79], v18 offset0:136 offset1:153
	ds_read2_b64 v[80:83], v18 offset0:170 offset1:187
	s_mov_b32 s0, 0x3f3504f3
	s_add_u32 s8, s12, 0xcc0
	s_addc_u32 s9, s13, 0
	s_waitcnt lgkmcnt(1)
	v_mov_b32_e32 v74, v77
	s_waitcnt lgkmcnt(0)
	v_mov_b32_e32 v88, v83
	s_waitcnt vmcnt(11)
	v_pk_mul_f32 v[72:73], v[76:77], v[30:31]
	s_nop 0
	v_mov_b32_e32 v72, v73
	v_mov_b32_e32 v84, v31
	v_pk_fma_f32 v[72:73], v[76:77], v[30:31], v[72:73] neg_lo:[0,0,1] neg_hi:[0,0,1]
	v_pk_mul_f32 v[76:77], v[76:77], v[84:85]
	ds_read2_b64 v[84:87], v18 offset0:238 offset1:255
	s_waitcnt vmcnt(10)
	v_mov_b32_e32 v90, v13
	v_pk_fma_f32 v[74:75], v[74:75], v[30:31], v[76:77]
	v_pk_mul_f32 v[76:77], v[82:83], v[12:13]
	v_pk_mul_f32 v[82:83], v[82:83], v[90:91]
	v_mov_b32_e32 v64, v29
	v_pk_fma_f32 v[96:97], v[88:89], v[12:13], v[82:83]
	ds_read2_b64 v[88:91], v66 offset0:16 offset1:33
	v_mov_b32_e32 v82, v15
	s_waitcnt lgkmcnt(1)
	v_pk_mul_f32 v[82:83], v[84:85], v[82:83] op_sel:[1,0] op_sel_hi:[0,1]
	v_pk_fma_f32 v[98:99], v[84:85], v[14:15], v[82:83] neg_lo:[0,0,1] neg_hi:[0,0,1]
	v_pk_mul_f32 v[82:83], v[84:85], v[14:15] op_sel:[1,0] op_sel_hi:[0,1]
	v_mov_b32_e32 v67, v82
	s_waitcnt vmcnt(9)
	v_mov_b32_e32 v82, v9
	v_pk_fma_f32 v[100:101], v[84:85], v[14:15], v[66:67] op_sel:[1,0,0] op_sel_hi:[0,1,1]
	s_waitcnt lgkmcnt(0)
	v_pk_mul_f32 v[92:93], v[90:91], v[82:83] op_sel:[1,0] op_sel_hi:[0,1]
	ds_read2_b64 v[82:85], v66 offset0:84 offset1:101
	v_pk_fma_f32 v[102:103], v[90:91], v[8:9], v[92:93] neg_lo:[0,0,1] neg_hi:[0,0,1]
	v_pk_mul_f32 v[92:93], v[90:91], v[8:9] op_sel:[1,0] op_sel_hi:[0,1]
	v_mov_b32_e32 v92, v93
	v_pk_fma_f32 v[104:105], v[90:91], v[8:9], v[92:93] op_sel:[1,0,0] op_sel_hi:[0,1,1]
	s_waitcnt lgkmcnt(0)
	v_pk_mul_f32 v[90:91], v[82:83], v[10:11]
	v_mov_b32_e32 v100, v11
	v_mov_b32_e32 v67, v90
	ds_read2_b64 v[90:93], v66 offset0:118 offset1:135
	v_pk_fma_f32 v[106:107], v[82:83], v[10:11], v[66:67] neg_lo:[1,0,0] neg_hi:[1,0,0]
	v_mov_b32_e32 v94, v83
	v_pk_mul_f32 v[82:83], v[82:83], v[100:101]
	v_pk_mul_f32 v[64:65], v[70:71], v[64:65] op_sel:[1,0] op_sel_hi:[0,1]
	v_pk_fma_f32 v[82:83], v[94:95], v[10:11], v[82:83]
	s_waitcnt vmcnt(8) lgkmcnt(0)
	v_pk_mul_f32 v[94:95], v[92:93], v[4:5]
	v_mov_b32_e32 v100, v5
	v_mov_b32_e32 v67, v94
	v_pk_fma_f32 v[64:65], v[70:71], v[28:29], v[64:65] neg_lo:[0,0,1] neg_hi:[0,0,1]
	v_pk_mul_f32 v[70:71], v[70:71], v[28:29] op_sel:[1,0] op_sel_hi:[0,1]
	v_pk_fma_f32 v[108:109], v[92:93], v[4:5], v[66:67] neg_lo:[1,0,0] neg_hi:[1,0,0]
	v_mov_b32_e32 v94, v93
	v_pk_mul_f32 v[92:93], v[92:93], v[100:101]
	v_mov_b32_e32 v114, v70
	v_pk_fma_f32 v[110:111], v[94:95], v[4:5], v[92:93]
	ds_read2_b64 v[92:95], v18 offset0:34 offset1:51
	v_mov_b32_e32 v115, v76
	v_mov_b32_e32 v76, v71
	v_pk_add_f32 v[70:71], v[114:115], v[76:77]
	v_pk_add_f32 v[76:77], v[114:115], v[76:77] neg_lo:[0,1] neg_hi:[0,1]
	v_mov_b32_e32 v105, v109
	v_mov_b32_e32 v71, v77
	v_pk_add_f32 v[102:103], v[64:65], v[102:103] neg_lo:[0,1] neg_hi:[0,1]
	v_add_f32_e32 v65, v64, v64
	v_add_f32_e32 v64, v70, v70
	v_pk_add_f32 v[70:71], v[70:71], v[104:105] neg_lo:[0,1] neg_hi:[0,1]
	v_pk_add_f32 v[104:105], v[96:97], v[110:111] neg_lo:[0,1] neg_hi:[0,1]
	v_mov_b32_e32 v100, v71
	v_mov_b32_e32 v99, v101
	v_mov_b32_e32 v75, v72
	v_mov_b32_e32 v83, v107
	v_add_f32_e32 v113, v72, v72
	v_add_f32_e32 v112, v74, v74
	;; [unrolled: 1-line block ×4, first 2 shown]
	v_pk_add_f32 v[96:97], v[102:103], v[104:105] neg_lo:[0,1] neg_hi:[0,1]
	v_pk_add_f32 v[108:109], v[70:71], v[100:101]
	s_waitcnt lgkmcnt(0)
	v_pk_add_f32 v[98:99], v[92:93], v[98:99] neg_lo:[0,1] neg_hi:[0,1]
	v_pk_add_f32 v[72:73], v[74:75], v[82:83] neg_lo:[0,1] neg_hi:[0,1]
	v_mov_b32_e32 v82, v70
	v_mov_b32_e32 v83, v102
	;; [unrolled: 1-line block ×3, first 2 shown]
	v_fma_f32 v110, v70, 2.0, -v108
	v_pk_fma_f32 v[92:93], v[92:93], 2.0, v[98:99] op_sel_hi:[1,0,1] neg_lo:[0,0,1] neg_hi:[0,0,1]
	v_pk_add_f32 v[74:75], v[112:113], v[72:73] neg_lo:[0,1] neg_hi:[0,1]
	v_pk_add_f32 v[64:65], v[64:65], v[82:83] neg_lo:[0,1] neg_hi:[0,1]
	;; [unrolled: 1-line block ×4, first 2 shown]
	v_pk_add_f32 v[72:73], v[98:99], v[72:73]
	v_fma_f32 v111, v102, 2.0, -v96
	v_pk_add_f32 v[82:83], v[92:93], v[74:75] op_sel:[0,1] op_sel_hi:[1,0] neg_lo:[0,1] neg_hi:[0,1]
	v_fma_f32 v75, v98, 2.0, -v112
	v_fma_f32 v74, v99, 2.0, -v73
	v_pk_add_f32 v[76:77], v[64:65], v[70:71] neg_lo:[0,1] neg_hi:[0,1]
	v_accvgpr_write_b32 a75, v11
	v_fma_f32 v114, v65, 2.0, -v77
	v_fma_f32 v115, v64, 2.0, -v76
	v_pk_fma_f32 v[64:65], v[110:111], s[0:1], v[74:75] op_sel_hi:[1,0,1] neg_lo:[1,0,0] neg_hi:[1,0,0]
	v_accvgpr_write_b32 a74, v10
	v_pk_fma_f32 v[70:71], v[110:111], s[0:1], v[64:65] op_sel:[0,0,1] op_sel_hi:[1,0,0] neg_lo:[1,0,0] neg_hi:[1,0,0]
	v_pk_fma_f32 v[64:65], v[110:111], s[0:1], v[64:65] op_sel:[0,0,1] op_sel_hi:[1,0,0]
	v_accvgpr_write_b32 a73, v9
	v_mov_b32_e32 v71, v65
	v_pk_add_f32 v[64:65], v[74:75], v[74:75]
	v_accvgpr_write_b32 a72, v8
	v_mov_b32_e32 v113, v73
	v_pk_add_f32 v[8:9], v[64:65], v[70:71] op_sel:[1,0] op_sel_hi:[0,1] neg_lo:[0,1] neg_hi:[0,1]
	v_pk_add_f32 v[72:73], v[82:83], v[76:77] neg_lo:[0,1] neg_hi:[0,1]
	v_pk_add_f32 v[64:65], v[82:83], v[76:77]
	v_mov_b32_e32 v97, v108
	v_mov_b32_e32 v73, v65
	v_pk_mul_f32 v[64:65], v[96:97], s[0:1] op_sel_hi:[1,0]
	v_pk_fma_f32 v[96:97], v[96:97], s[0:1], v[112:113] op_sel_hi:[1,0,1]
	s_waitcnt vmcnt(4)
	v_mov_b32_e32 v118, v63
	v_pk_add_f32 v[74:75], v[96:97], v[64:65] op_sel:[0,1] op_sel_hi:[1,0] neg_lo:[0,1] neg_hi:[0,1]
	v_pk_add_f32 v[64:65], v[96:97], v[64:65] op_sel:[0,1] op_sel_hi:[1,0]
	ds_read2_b64 v[96:99], v18 offset1:17
	ds_read2_b64 v[100:103], v18 offset0:102 offset1:119
	ds_read2_b64 v[104:107], v18 offset0:204 offset1:221
	;; [unrolled: 1-line block ×3, first 2 shown]
	v_mov_b32_e32 v75, v65
	s_waitcnt vmcnt(0)
	v_pk_mul_f32 v[64:65], v[68:69], v[48:49] op_sel:[0,1]
	v_mov_b32_e32 v120, v57
	v_pk_fma_f32 v[116:117], v[68:69], v[48:49], v[64:65] op_sel:[0,0,1] op_sel_hi:[1,1,0] neg_lo:[0,0,1] neg_hi:[0,0,1]
	v_pk_fma_f32 v[64:65], v[68:69], v[48:49], v[64:65] op_sel:[0,0,1] op_sel_hi:[1,0,0]
	v_add_u32_e32 v67, 0x400, v18
	v_mov_b32_e32 v64, v51
	v_mov_b32_e32 v117, v65
	s_waitcnt lgkmcnt(2)
	v_pk_mul_f32 v[64:65], v[102:103], v[64:65] op_sel_hi:[1,0]
	v_accvgpr_write_b32 a77, v5
	v_pk_fma_f32 v[68:69], v[102:103], v[50:51], v[64:65] op_sel:[0,0,1] op_sel_hi:[1,1,0] neg_lo:[0,0,1] neg_hi:[0,0,1]
	v_pk_fma_f32 v[64:65], v[102:103], v[50:51], v[64:65] op_sel:[0,0,1] op_sel_hi:[1,0,0]
	v_accvgpr_write_b32 a81, v15
	v_mov_b32_e32 v69, v65
	v_pk_mul_f32 v[64:65], v[80:81], v[44:45] op_sel:[0,1]
	v_accvgpr_write_b32 a76, v4
	v_pk_fma_f32 v[102:103], v[80:81], v[44:45], v[64:65] op_sel:[0,0,1] op_sel_hi:[1,1,0] neg_lo:[0,0,1] neg_hi:[0,0,1]
	v_pk_fma_f32 v[64:65], v[80:81], v[44:45], v[64:65] op_sel:[0,0,1] op_sel_hi:[1,0,0]
	v_accvgpr_read_b32 v4, a44
	v_mov_b32_e32 v64, v47
	v_mov_b32_e32 v103, v65
	s_waitcnt lgkmcnt(1)
	v_pk_mul_f32 v[64:65], v[106:107], v[64:65] op_sel_hi:[1,0]
	v_accvgpr_read_b32 v5, a45
	v_pk_fma_f32 v[80:81], v[106:107], v[46:47], v[64:65] op_sel:[0,0,1] op_sel_hi:[1,1,0] neg_lo:[0,0,1] neg_hi:[0,0,1]
	v_pk_fma_f32 v[64:65], v[106:107], v[46:47], v[64:65] op_sel:[0,0,1] op_sel_hi:[1,0,0]
	v_accvgpr_write_b32 a80, v14
	v_mov_b32_e32 v81, v65
	v_pk_mul_f32 v[64:65], v[88:89], v[40:41] op_sel:[0,1]
	v_accvgpr_write_b32 a79, v13
	v_pk_fma_f32 v[106:107], v[88:89], v[40:41], v[64:65] op_sel:[0,0,1] op_sel_hi:[1,1,0] neg_lo:[0,0,1] neg_hi:[0,0,1]
	v_pk_fma_f32 v[64:65], v[88:89], v[40:41], v[64:65] op_sel:[0,0,1] op_sel_hi:[1,0,0]
	v_accvgpr_write_b32 a78, v12
	v_mov_b32_e32 v64, v43
	v_mov_b32_e32 v107, v65
	s_waitcnt lgkmcnt(0)
	v_pk_mul_f32 v[64:65], v[110:111], v[64:65] op_sel_hi:[1,0]
	v_lshl_add_u32 v4, v5, 3, v4
	v_pk_fma_f32 v[88:89], v[110:111], v[42:43], v[64:65] op_sel:[0,0,1] op_sel_hi:[1,1,0] neg_lo:[0,0,1] neg_hi:[0,0,1]
	v_pk_fma_f32 v[64:65], v[110:111], v[42:43], v[64:65] op_sel:[0,0,1] op_sel_hi:[1,0,0]
	v_pk_fma_f32 v[12:13], v[112:113], 2.0, v[74:75] op_sel_hi:[1,0,1] neg_lo:[0,0,1] neg_hi:[0,0,1]
	v_mov_b32_e32 v89, v65
	v_pk_mul_f32 v[64:65], v[90:91], v[16:17] op_sel:[0,1]
	v_pk_add_f32 v[88:89], v[68:69], v[88:89] neg_lo:[0,1] neg_hi:[0,1]
	v_pk_fma_f32 v[110:111], v[90:91], v[16:17], v[64:65] op_sel:[0,0,1] op_sel_hi:[1,1,0] neg_lo:[0,0,1] neg_hi:[0,0,1]
	v_pk_fma_f32 v[64:65], v[90:91], v[16:17], v[64:65] op_sel:[0,0,1] op_sel_hi:[1,0,0]
	v_pk_add_f32 v[90:91], v[116:117], v[106:107] neg_lo:[0,1] neg_hi:[0,1]
	v_mov_b32_e32 v111, v65
	v_pk_add_f32 v[64:65], v[98:99], v[80:81] neg_lo:[0,1] neg_hi:[0,1]
	v_pk_add_f32 v[106:107], v[102:103], v[110:111] neg_lo:[0,1] neg_hi:[0,1]
	v_pk_mul_f32 v[110:111], v[94:95], v[60:61] op_sel:[0,1]
	v_pk_fma_f32 v[80:81], v[98:99], 2.0, v[64:65] op_sel_hi:[1,0,1] neg_lo:[0,0,1] neg_hi:[0,0,1]
	v_pk_fma_f32 v[98:99], v[116:117], 2.0, v[90:91] op_sel_hi:[1,0,1] neg_lo:[0,0,1] neg_hi:[0,0,1]
	v_pk_fma_f32 v[116:117], v[94:95], v[60:61], v[110:111] op_sel:[0,0,1] op_sel_hi:[1,1,0] neg_lo:[0,0,1] neg_hi:[0,0,1]
	v_pk_fma_f32 v[94:95], v[94:95], v[60:61], v[110:111] op_sel:[0,0,1] op_sel_hi:[1,0,0]
	v_mov_b32_e32 v110, v63
	v_mov_b32_e32 v117, v95
	v_pk_mul_f32 v[94:95], v[100:101], v[62:63] op_sel_hi:[1,0]
	v_pk_fma_f32 v[68:69], v[68:69], 2.0, v[88:89] op_sel_hi:[1,0,1] neg_lo:[0,0,1] neg_hi:[0,0,1]
	v_pk_fma_f32 v[110:111], v[100:101], v[110:111], v[94:95] op_sel:[0,0,1] op_sel_hi:[1,1,0]
	v_pk_fma_f32 v[94:95], v[100:101], v[118:119], v[94:95] op_sel:[0,0,1] op_sel_hi:[1,0,0] neg_lo:[1,0,0] neg_hi:[1,0,0]
	v_mov_b32_e32 v118, v55
	v_mov_b32_e32 v94, v59
	;; [unrolled: 1-line block ×3, first 2 shown]
	v_pk_mul_f32 v[94:95], v[104:105], v[94:95] op_sel_hi:[1,0]
	v_pk_fma_f32 v[102:103], v[102:103], 2.0, v[106:107] op_sel_hi:[1,0,1] neg_lo:[0,0,1] neg_hi:[0,0,1]
	v_pk_fma_f32 v[100:101], v[104:105], v[58:59], v[94:95] op_sel:[0,0,1] op_sel_hi:[1,1,0] neg_lo:[0,0,1] neg_hi:[0,0,1]
	v_pk_fma_f32 v[94:95], v[104:105], v[58:59], v[94:95] op_sel:[0,0,1] op_sel_hi:[1,0,0]
	v_pk_add_f32 v[68:69], v[80:81], v[68:69] neg_lo:[0,1] neg_hi:[0,1]
	v_mov_b32_e32 v101, v95
	v_pk_mul_f32 v[94:95], v[86:87], v[52:53] op_sel:[0,1]
	v_pk_add_f32 v[102:103], v[98:99], v[102:103] neg_lo:[0,1] neg_hi:[0,1]
	v_pk_fma_f32 v[104:105], v[86:87], v[52:53], v[94:95] op_sel:[0,0,1] op_sel_hi:[1,1,0] neg_lo:[0,0,1] neg_hi:[0,0,1]
	v_pk_fma_f32 v[86:87], v[86:87], v[52:53], v[94:95] op_sel:[0,0,1] op_sel_hi:[1,0,0]
	v_mov_b32_e32 v94, v55
	v_mov_b32_e32 v105, v87
	v_pk_mul_f32 v[86:87], v[108:109], v[54:55] op_sel_hi:[1,0]
	v_pk_fma_f32 v[80:81], v[80:81], 2.0, v[68:69] op_sel_hi:[1,0,1] neg_lo:[0,0,1] neg_hi:[0,0,1]
	v_pk_fma_f32 v[94:95], v[108:109], v[94:95], v[86:87] op_sel:[0,0,1] op_sel_hi:[1,1,0]
	v_pk_fma_f32 v[86:87], v[108:109], v[118:119], v[86:87] op_sel:[0,0,1] op_sel_hi:[1,0,0] neg_lo:[1,0,0] neg_hi:[1,0,0]
	v_pk_mul_f32 v[118:119], v[78:79], v[56:57] op_sel_hi:[1,0]
	v_mov_b32_e32 v95, v87
	v_pk_fma_f32 v[120:121], v[78:79], v[120:121], v[118:119] op_sel:[0,0,1] op_sel_hi:[1,1,0]
	v_pk_fma_f32 v[78:79], v[78:79], v[56:57], v[118:119] op_sel:[0,1,1] op_sel_hi:[1,1,0] neg_lo:[1,0,0] neg_hi:[1,0,0]
	v_mov_b32_e32 v118, v33
	v_mov_b32_e32 v121, v79
	v_pk_mul_f32 v[78:79], v[84:85], v[32:33] op_sel_hi:[1,0]
	v_pk_add_f32 v[86:87], v[96:97], v[100:101] neg_lo:[0,1] neg_hi:[0,1]
	v_pk_fma_f32 v[118:119], v[84:85], v[118:119], v[78:79] op_sel:[0,0,1] op_sel_hi:[1,1,0]
	v_pk_fma_f32 v[78:79], v[84:85], v[32:33], v[78:79] op_sel:[0,1,1] op_sel_hi:[1,1,0] neg_lo:[1,0,0] neg_hi:[1,0,0]
	v_pk_add_f32 v[94:95], v[110:111], v[94:95] neg_lo:[0,1] neg_hi:[0,1]
	v_mov_b32_e32 v119, v79
	v_pk_add_f32 v[100:101], v[116:117], v[104:105] neg_lo:[0,1] neg_hi:[0,1]
	v_pk_add_f32 v[78:79], v[120:121], v[118:119] neg_lo:[0,1] neg_hi:[0,1]
	v_pk_add_f32 v[104:105], v[86:87], v[94:95] neg_lo:[0,1] neg_hi:[0,1]
	v_pk_add_f32 v[108:109], v[86:87], v[94:95]
	v_pk_fma_f32 v[84:85], v[120:121], 2.0, v[78:79] op_sel_hi:[1,0,1] neg_lo:[0,0,1] neg_hi:[0,0,1]
	v_pk_fma_f32 v[94:95], v[110:111], 2.0, v[94:95] op_sel_hi:[1,0,1] neg_lo:[0,0,1] neg_hi:[0,0,1]
	v_pk_add_f32 v[110:111], v[100:101], v[78:79] neg_lo:[0,1] neg_hi:[0,1]
	v_pk_add_f32 v[78:79], v[100:101], v[78:79]
	v_mov_b32_e32 v105, v109
	v_mov_b32_e32 v111, v79
	v_pk_fma_f32 v[108:109], v[86:87], 2.0, v[104:105] op_sel_hi:[1,0,1] neg_lo:[0,0,1] neg_hi:[0,0,1]
	v_pk_fma_f32 v[78:79], v[100:101], 2.0, v[110:111] op_sel_hi:[1,0,1] neg_lo:[0,0,1] neg_hi:[0,0,1]
	;; [unrolled: 1-line block ×4, first 2 shown]
	v_pk_mul_f32 v[100:101], v[78:79], s[0:1] op_sel_hi:[1,0]
	v_pk_fma_f32 v[78:79], v[78:79], s[0:1], v[108:109] op_sel_hi:[1,0,1] neg_lo:[1,0,0] neg_hi:[1,0,0]
	v_pk_add_f32 v[94:95], v[86:87], v[94:95] op_sel:[0,1] op_sel_hi:[1,0] neg_lo:[0,1] neg_hi:[0,1]
	v_pk_add_f32 v[116:117], v[78:79], v[100:101] op_sel:[0,1] op_sel_hi:[1,0] neg_lo:[0,1] neg_hi:[0,1]
	v_pk_add_f32 v[78:79], v[78:79], v[100:101] op_sel:[0,1] op_sel_hi:[1,0]
	v_pk_add_f32 v[84:85], v[96:97], v[84:85] op_sel:[1,0] op_sel_hi:[0,1] neg_lo:[0,1] neg_hi:[0,1]
	v_mov_b32_e32 v117, v79
	v_pk_fma_f32 v[98:99], v[98:99], 2.0, v[102:103] op_sel_hi:[1,0,1] neg_lo:[0,0,1] neg_hi:[0,0,1]
	v_pk_fma_f32 v[78:79], v[108:109], 2.0, v[116:117] op_sel_hi:[1,0,1] neg_lo:[0,0,1] neg_hi:[0,0,1]
	v_pk_add_f32 v[100:101], v[94:95], v[84:85] neg_lo:[0,1] neg_hi:[0,1]
	v_pk_add_f32 v[108:109], v[94:95], v[84:85]
	v_pk_mul_f32 v[118:119], v[110:111], s[0:1] op_sel_hi:[1,0]
	v_pk_fma_f32 v[110:111], v[110:111], s[0:1], v[104:105] op_sel_hi:[1,0,1]
	v_pk_add_f32 v[98:99], v[80:81], v[98:99] neg_lo:[0,1] neg_hi:[0,1]
	v_mov_b32_e32 v101, v109
	v_pk_add_f32 v[120:121], v[110:111], v[118:119] op_sel:[0,1] op_sel_hi:[1,0] neg_lo:[0,1] neg_hi:[0,1]
	v_pk_add_f32 v[110:111], v[110:111], v[118:119] op_sel:[0,1] op_sel_hi:[1,0]
	v_pk_fma_f32 v[86:87], v[86:87], 2.0, v[94:95] op_sel_hi:[1,0,1] neg_lo:[0,0,1] neg_hi:[0,0,1]
	v_pk_fma_f32 v[84:85], v[96:97], 2.0, v[84:85] op_sel:[1,0,0] op_sel_hi:[0,0,1] neg_lo:[0,0,1] neg_hi:[0,0,1]
	v_pk_fma_f32 v[80:81], v[80:81], 2.0, v[98:99] op_sel_hi:[1,0,1] neg_lo:[0,0,1] neg_hi:[0,0,1]
	v_pk_fma_f32 v[108:109], v[94:95], 2.0, v[100:101] op_sel_hi:[1,0,1] neg_lo:[0,0,1] neg_hi:[0,0,1]
	v_mov_b32_e32 v121, v111
	v_pk_add_f32 v[84:85], v[86:87], v[84:85] op_sel:[0,1] op_sel_hi:[1,0] neg_lo:[0,1] neg_hi:[0,1]
	v_pk_fma_f32 v[104:105], v[104:105], 2.0, v[120:121] op_sel_hi:[1,0,1] neg_lo:[0,0,1] neg_hi:[0,0,1]
	v_pk_fma_f32 v[86:87], v[86:87], 2.0, v[84:85] op_sel_hi:[1,0,1] neg_lo:[0,0,1] neg_hi:[0,0,1]
	ds_write2_b64 v18, v[78:79], v[108:109] offset0:51 offset1:102
	ds_write2_b64 v18, v[104:105], v[84:85] offset0:153 offset1:204
	;; [unrolled: 1-line block ×3, first 2 shown]
	ds_write_b64 v18, v[120:121] offset:2856
	ds_write2_b64 v18, v[86:87], v[80:81] offset1:17
	v_pk_add_f32 v[78:79], v[64:65], v[88:89] op_sel:[0,1] op_sel_hi:[1,0] neg_lo:[0,1] neg_hi:[0,1]
	v_pk_add_f32 v[80:81], v[64:65], v[88:89] op_sel:[0,1] op_sel_hi:[1,0]
	v_pk_add_f32 v[84:85], v[90:91], v[106:107] op_sel:[0,1] op_sel_hi:[1,0]
	v_mov_b32_e32 v79, v81
	v_pk_add_f32 v[80:81], v[90:91], v[106:107] op_sel:[0,1] op_sel_hi:[1,0] neg_lo:[0,1] neg_hi:[0,1]
	v_pk_fma_f32 v[64:65], v[64:65], 2.0, v[78:79] op_sel_hi:[1,0,1] neg_lo:[0,0,1] neg_hi:[0,0,1]
	v_mov_b32_e32 v81, v85
	v_pk_fma_f32 v[84:85], v[90:91], 2.0, v[80:81] op_sel_hi:[1,0,1] neg_lo:[0,0,1] neg_hi:[0,0,1]
	v_pk_fma_f32 v[10:11], v[82:83], 2.0, v[72:73] op_sel_hi:[1,0,1] neg_lo:[0,0,1] neg_hi:[0,0,1]
	v_pk_mul_f32 v[86:87], v[84:85], s[0:1] op_sel_hi:[1,0]
	v_pk_fma_f32 v[84:85], v[84:85], s[0:1], v[64:65] op_sel_hi:[1,0,1] neg_lo:[1,0,0] neg_hi:[1,0,0]
	v_accvgpr_write_b32 a107, v4
	v_pk_add_f32 v[88:89], v[84:85], v[86:87] op_sel:[0,1] op_sel_hi:[1,0] neg_lo:[0,1] neg_hi:[0,1]
	v_pk_add_f32 v[84:85], v[84:85], v[86:87] op_sel:[0,1] op_sel_hi:[1,0]
	v_pk_add_f32 v[86:87], v[68:69], v[102:103] op_sel:[0,1] op_sel_hi:[1,0]
	v_mov_b32_e32 v89, v85
	v_pk_add_f32 v[84:85], v[68:69], v[102:103] op_sel:[0,1] op_sel_hi:[1,0] neg_lo:[0,1] neg_hi:[0,1]
	v_pk_fma_f32 v[64:65], v[64:65], 2.0, v[88:89] op_sel_hi:[1,0,1] neg_lo:[0,0,1] neg_hi:[0,0,1]
	v_mov_b32_e32 v85, v87
	v_pk_fma_f32 v[86:87], v[68:69], 2.0, v[84:85] op_sel_hi:[1,0,1] neg_lo:[0,0,1] neg_hi:[0,0,1]
	v_pk_mul_f32 v[68:69], v[80:81], s[0:1] op_sel_hi:[1,0]
	v_pk_fma_f32 v[80:81], v[80:81], s[0:1], v[78:79] op_sel_hi:[1,0,1]
	v_accvgpr_write_b32 a85, v31
	v_pk_add_f32 v[90:91], v[80:81], v[68:69] op_sel:[0,1] op_sel_hi:[1,0] neg_lo:[0,1] neg_hi:[0,1]
	v_pk_add_f32 v[68:69], v[80:81], v[68:69] op_sel:[0,1] op_sel_hi:[1,0]
	v_accvgpr_write_b32 a87, v17
	v_mov_b32_e32 v91, v69
	v_pk_fma_f32 v[80:81], v[78:79], 2.0, v[90:91] op_sel_hi:[1,0,1] neg_lo:[0,0,1] neg_hi:[0,0,1]
	v_pk_fma_f32 v[78:79], v[92:93], 2.0, v[82:83] op_sel_hi:[1,0,1] neg_lo:[0,0,1] neg_hi:[0,0,1]
	v_accvgpr_write_b32 a111, v9
	v_pk_add_f32 v[68:69], v[78:79], v[114:115] neg_lo:[0,1] neg_hi:[0,1]
	v_accvgpr_write_b32 a115, v13
	v_pk_fma_f32 v[78:79], v[78:79], 2.0, v[68:69] op_sel_hi:[1,0,1] neg_lo:[0,0,1] neg_hi:[0,0,1]
	ds_write_b64 v18, v[78:79] offset:272
	ds_write2_b64 v4, v[64:65], v[8:9] offset0:68 offset1:85
	ds_write2_b64 v4, v[86:87], v[10:11] offset0:119 offset1:136
	;; [unrolled: 1-line block ×4, first 2 shown]
	v_add_u32_e32 v4, 0x800, v4
	ds_write2_b64 v4, v[88:89], v[70:71] offset0:16 offset1:33
	ds_write2_b64 v4, v[84:85], v[72:73] offset0:67 offset1:84
	;; [unrolled: 1-line block ×3, first 2 shown]
	v_accvgpr_read_b32 v5, a1
	v_accvgpr_read_b32 v4, a0
	s_waitcnt lgkmcnt(0)
	; wave barrier
	s_waitcnt lgkmcnt(0)
	global_load_dwordx2 v[84:85], v[4:5], off offset:3264
	v_lshlrev_b32_e32 v64, 3, v6
	global_load_dwordx2 v[88:89], v64, s[8:9] offset:192
	global_load_dwordx2 v[90:91], v64, s[8:9] offset:384
	;; [unrolled: 1-line block ×16, first 2 shown]
	ds_read2_b64 v[80:83], v18 offset1:24
	v_accvgpr_write_b32 a84, v30
	v_accvgpr_write_b32 a83, v29
	v_accvgpr_write_b32 a82, v28
	v_accvgpr_write_b32 a86, v16
	v_accvgpr_write_b32 a110, v8
	v_accvgpr_write_b32 a114, v12
	v_accvgpr_write_b32 a113, v11
	v_accvgpr_write_b32 a112, v10
	s_waitcnt vmcnt(16) lgkmcnt(0)
	v_mul_f32_e32 v4, v81, v85
	v_mul_f32_e32 v121, v80, v85
	v_fma_f32 v120, v80, v84, -v4
	v_fmac_f32_e32 v121, v81, v84
	ds_read2_b64 v[84:87], v18 offset0:48 offset1:72
	s_waitcnt vmcnt(15)
	v_mul_f32_e32 v4, v83, v89
	v_mul_f32_e32 v81, v82, v89
	v_fma_f32 v80, v82, v88, -v4
	v_fmac_f32_e32 v81, v83, v88
	ds_write2_b64 v18, v[120:121], v[80:81] offset1:24
	ds_read2_b64 v[80:83], v18 offset0:96 offset1:120
	s_waitcnt vmcnt(14) lgkmcnt(2)
	v_mul_f32_e32 v4, v85, v91
	v_mul_f32_e32 v89, v84, v91
	v_fma_f32 v88, v84, v90, -v4
	v_fmac_f32_e32 v89, v85, v90
	s_waitcnt vmcnt(13)
	v_mul_f32_e32 v4, v87, v93
	v_mul_f32_e32 v85, v86, v93
	v_fma_f32 v84, v86, v92, -v4
	v_fmac_f32_e32 v85, v87, v92
	ds_write2_b64 v18, v[88:89], v[84:85] offset0:48 offset1:72
	ds_read2_b64 v[84:87], v18 offset0:144 offset1:168
	s_waitcnt vmcnt(12) lgkmcnt(2)
	v_mul_f32_e32 v4, v81, v95
	v_mul_f32_e32 v89, v80, v95
	v_fma_f32 v88, v80, v94, -v4
	v_fmac_f32_e32 v89, v81, v94
	s_waitcnt vmcnt(11)
	v_mul_f32_e32 v4, v83, v97
	v_mul_f32_e32 v81, v82, v97
	v_fma_f32 v80, v82, v96, -v4
	v_fmac_f32_e32 v81, v83, v96
	ds_write2_b64 v18, v[88:89], v[80:81] offset0:96 offset1:120
	;; [unrolled: 12-line block ×5, first 2 shown]
	ds_read2_b64 v[84:87], v66 offset0:80 offset1:104
	s_waitcnt vmcnt(4) lgkmcnt(2)
	v_mul_f32_e32 v4, v81, v111
	v_mul_f32_e32 v89, v80, v111
	v_fma_f32 v88, v80, v110, -v4
	v_fmac_f32_e32 v89, v81, v110
	s_waitcnt vmcnt(3)
	v_mul_f32_e32 v4, v83, v113
	v_mul_f32_e32 v81, v82, v113
	v_fma_f32 v80, v82, v112, -v4
	v_fmac_f32_e32 v81, v83, v112
	ds_read_b64 v[82:83], v18 offset:3072
	ds_write2_b64 v66, v[88:89], v[80:81] offset0:32 offset1:56
	s_waitcnt vmcnt(2) lgkmcnt(2)
	v_mul_f32_e32 v4, v85, v115
	v_mul_f32_e32 v81, v84, v115
	v_fma_f32 v80, v84, v114, -v4
	v_fmac_f32_e32 v81, v85, v114
	s_waitcnt vmcnt(1)
	v_mul_f32_e32 v4, v87, v117
	v_mul_f32_e32 v85, v86, v117
	v_fma_f32 v84, v86, v116, -v4
	v_fmac_f32_e32 v85, v87, v116
	ds_write2_b64 v66, v[80:81], v[84:85] offset0:80 offset1:104
	s_waitcnt vmcnt(0) lgkmcnt(2)
	v_mul_f32_e32 v4, v83, v119
	v_mul_f32_e32 v81, v82, v119
	v_fma_f32 v80, v82, v118, -v4
	v_fmac_f32_e32 v81, v83, v118
	ds_write_b64 v18, v[80:81] offset:3072
	s_and_saveexec_b64 s[0:1], vcc
	s_cbranch_execz .LBB0_9
; %bb.8:
	v_mov_b32_e32 v65, 0
	v_lshl_add_u64 v[64:65], s[8:9], 0, v[64:65]
	global_load_dwordx2 v[108:109], v[64:65], off offset:136
	global_load_dwordx2 v[110:111], v[64:65], off offset:328
	;; [unrolled: 1-line block ×16, first 2 shown]
	ds_read2_b64 v[80:83], v18 offset0:17 offset1:41
	ds_read2_b64 v[84:87], v18 offset0:65 offset1:89
	global_load_dwordx2 v[64:65], v[64:65], off offset:3208
	ds_read2_b64 v[88:91], v18 offset0:113 offset1:137
	ds_read2_b64 v[92:95], v18 offset0:161 offset1:185
	;; [unrolled: 1-line block ×5, first 2 shown]
	s_waitcnt vmcnt(16) lgkmcnt(6)
	v_mul_f32_e32 v4, v81, v109
	v_mul_f32_e32 v141, v80, v109
	s_waitcnt vmcnt(15)
	v_mul_f32_e32 v5, v83, v111
	v_mul_f32_e32 v109, v82, v111
	s_waitcnt vmcnt(14) lgkmcnt(5)
	v_mul_f32_e32 v6, v85, v113
	v_mul_f32_e32 v111, v84, v113
	s_waitcnt vmcnt(13)
	v_mul_f32_e32 v7, v87, v115
	v_mul_f32_e32 v113, v86, v115
	;; [unrolled: 6-line block ×6, first 2 shown]
	v_fma_f32 v140, v80, v108, -v4
	v_fmac_f32_e32 v141, v81, v108
	v_fma_f32 v108, v82, v110, -v5
	v_fmac_f32_e32 v109, v83, v110
	;; [unrolled: 2-line block ×12, first 2 shown]
	ds_write2_b64 v18, v[140:141], v[108:109] offset0:17 offset1:41
	ds_write2_b64 v18, v[110:111], v[112:113] offset0:65 offset1:89
	;; [unrolled: 1-line block ×6, first 2 shown]
	ds_read2_b64 v[80:83], v66 offset0:97 offset1:121
	s_waitcnt vmcnt(4) lgkmcnt(7)
	v_mul_f32_e32 v16, v105, v133
	v_mul_f32_e32 v131, v104, v133
	s_waitcnt vmcnt(3)
	v_mul_f32_e32 v17, v107, v135
	v_mul_f32_e32 v85, v106, v135
	v_fma_f32 v130, v104, v132, -v16
	v_fmac_f32_e32 v131, v105, v132
	v_fma_f32 v84, v106, v134, -v17
	v_fmac_f32_e32 v85, v107, v134
	ds_write2_b64 v66, v[130:131], v[84:85] offset0:49 offset1:73
	s_waitcnt vmcnt(2) lgkmcnt(1)
	v_mul_f32_e32 v4, v81, v137
	v_mul_f32_e32 v85, v80, v137
	v_fma_f32 v84, v80, v136, -v4
	v_fmac_f32_e32 v85, v81, v136
	ds_read_b64 v[80:81], v18 offset:3208
	s_waitcnt vmcnt(1)
	v_mul_f32_e32 v4, v83, v139
	v_mul_f32_e32 v87, v82, v139
	v_fma_f32 v86, v82, v138, -v4
	v_fmac_f32_e32 v87, v83, v138
	s_waitcnt vmcnt(0) lgkmcnt(0)
	v_mul_f32_e32 v4, v81, v65
	v_mul_f32_e32 v83, v80, v65
	v_fma_f32 v82, v80, v64, -v4
	v_fmac_f32_e32 v83, v81, v64
	ds_write2_b64 v66, v[84:85], v[86:87] offset0:97 offset1:121
	ds_write_b64 v18, v[82:83] offset:3208
.LBB0_9:
	s_or_b64 exec, exec, s[0:1]
	s_waitcnt lgkmcnt(0)
	; wave barrier
	s_waitcnt lgkmcnt(0)
	ds_read2_b64 v[80:83], v18 offset1:24
	ds_read2_b64 v[104:107], v18 offset0:48 offset1:72
	ds_read2_b64 v[96:99], v18 offset0:96 offset1:120
	;; [unrolled: 1-line block ×7, first 2 shown]
	ds_read_b64 v[66:67], v18 offset:3072
	v_accvgpr_write_b32 a45, v33
	v_accvgpr_write_b32 a60, v146
	;; [unrolled: 1-line block ×10, first 2 shown]
	s_and_saveexec_b64 s[0:1], vcc
	s_cbranch_execz .LBB0_11
; %bb.10:
	v_accvgpr_read_b32 v4, a20
	v_accvgpr_read_b32 v5, a21
	v_lshl_add_u32 v4, v4, 3, v5
	v_accvgpr_read_b32 v5, a2
	ds_read2_b64 a[112:115], v4 offset0:41 offset1:65
	ds_read_b64 a[110:111], v5 offset:136
	ds_read2_b64 v[68:71], v4 offset0:89 offset1:113
	ds_read2_b64 v[72:75], v4 offset0:137 offset1:161
	;; [unrolled: 1-line block ×3, first 2 shown]
	v_add_u32_e32 v5, 0x800, v4
	ds_read2_b64 v[6:9], v5 offset0:121 offset1:145
	ds_read2_b64 v[116:119], v5 offset0:73 offset1:97
	v_add_u32_e32 v4, 0x400, v4
	ds_read2_b64 v[120:123], v5 offset0:25 offset1:49
	ds_read2_b64 v[124:127], v4 offset0:105 offset1:129
	s_waitcnt lgkmcnt(4)
	v_accvgpr_write_b32 a102, v114
	s_waitcnt lgkmcnt(3)
	v_accvgpr_write_b32 a109, v9
	v_accvgpr_write_b32 a89, v7
	s_waitcnt lgkmcnt(2)
	v_accvgpr_write_b32 a90, v118
	;; [unrolled: 3-line block ×4, first 2 shown]
	v_accvgpr_write_b32 a104, v124
	v_accvgpr_write_b32 a100, v112
	;; [unrolled: 1-line block ×12, first 2 shown]
.LBB0_11:
	s_or_b64 exec, exec, s[0:1]
	s_waitcnt lgkmcnt(8)
	v_pk_add_f32 v[64:65], v[80:81], v[82:83]
	s_mov_b32 s20, 0xbeb8f4ab
	s_waitcnt lgkmcnt(7)
	v_pk_add_f32 v[64:65], v[64:65], v[104:105]
	s_mov_b32 s12, 0x3f6eb680
	v_pk_add_f32 v[64:65], v[64:65], v[106:107]
	s_waitcnt lgkmcnt(1)
	v_pk_add_f32 v[178:179], v[110:111], v[104:105]
	v_pk_add_f32 v[64:65], v[64:65], v[96:97]
	v_pk_add_f32 v[104:105], v[104:105], v[110:111] neg_lo:[0,1] neg_hi:[0,1]
	v_pk_add_f32 v[64:65], v[64:65], v[98:99]
	s_mov_b32 s36, 0xbf2c7751
	v_pk_add_f32 v[64:65], v[64:65], v[88:89]
	s_mov_b32 s0, 0x3f3d2fb0
	v_pk_add_f32 v[64:65], v[64:65], v[90:91]
	v_pk_add_f32 v[182:183], v[106:107], v[108:109] neg_lo:[0,1] neg_hi:[0,1]
	v_pk_add_f32 v[64:65], v[64:65], v[84:85]
	s_mov_b32 s44, 0xbf65296c
	v_pk_add_f32 v[64:65], v[64:65], v[86:87]
	s_mov_b32 s8, 0x3ee437d1
	v_pk_add_f32 v[64:65], v[64:65], v[92:93]
	v_pk_add_f32 v[184:185], v[102:103], v[96:97]
	;; [unrolled: 1-line block ×3, first 2 shown]
	s_mov_b32 s28, 0xbf7ee86f
	v_pk_add_f32 v[64:65], v[64:65], v[100:101]
	s_mov_b32 s10, 0x3dbcf732
	v_pk_add_f32 v[64:65], v[64:65], v[102:103]
	v_pk_add_f32 v[102:103], v[96:97], v[102:103] neg_lo:[0,1] neg_hi:[0,1]
	v_pk_add_f32 v[64:65], v[64:65], v[108:109]
	v_pk_mul_f32 v[96:97], v[102:103], s[28:29] op_sel_hi:[1,0]
	v_pk_add_f32 v[64:65], v[64:65], v[110:111]
	v_pk_mul_f32 v[110:111], v[104:105], s[36:37] op_sel_hi:[1,0]
	s_waitcnt lgkmcnt(0)
	v_pk_add_f32 v[112:113], v[64:65], v[66:67]
	v_pk_add_f32 v[64:65], v[66:67], v[82:83]
	v_pk_add_f32 v[82:83], v[82:83], v[66:67] neg_lo:[0,1] neg_hi:[0,1]
	v_pk_fma_f32 v[22:23], v[178:179], s[0:1], v[110:111] op_sel:[0,0,1] op_sel_hi:[1,0,0]
	v_pk_mul_f32 v[66:67], v[82:83], s[20:21] op_sel_hi:[1,0]
	v_pk_fma_f32 v[208:209], v[178:179], s[0:1], v[110:111] op_sel:[0,0,1] op_sel_hi:[1,0,0] neg_lo:[0,0,1] neg_hi:[0,0,1]
	v_pk_fma_f32 v[20:21], v[64:65], s[12:13], v[66:67] op_sel:[0,0,1] op_sel_hi:[1,0,0]
	v_pk_fma_f32 v[204:205], v[64:65], s[12:13], v[66:67] op_sel:[0,0,1] op_sel_hi:[1,0,0] neg_lo:[0,0,1] neg_hi:[0,0,1]
	v_mov_b32_e32 v66, v20
	v_mov_b32_e32 v67, v205
	v_pk_add_f32 v[66:67], v[80:81], v[66:67]
	v_mov_b32_e32 v110, v22
	v_mov_b32_e32 v111, v209
	v_pk_add_f32 v[66:67], v[110:111], v[66:67]
	v_pk_add_f32 v[110:111], v[108:109], v[106:107]
	v_pk_mul_f32 v[106:107], v[182:183], s[44:45] op_sel_hi:[1,0]
	v_pk_fma_f32 v[216:217], v[184:185], s[10:11], v[96:97] op_sel:[0,0,1] op_sel_hi:[1,0,0] neg_lo:[0,0,1] neg_hi:[0,0,1]
	v_pk_fma_f32 v[4:5], v[110:111], s[8:9], v[106:107] op_sel:[0,0,1] op_sel_hi:[1,0,0]
	v_pk_fma_f32 v[212:213], v[110:111], s[8:9], v[106:107] op_sel:[0,0,1] op_sel_hi:[1,0,0] neg_lo:[0,0,1] neg_hi:[0,0,1]
	v_mov_b32_e32 v106, v4
	v_accvgpr_write_b32 a117, v5
	v_mov_b32_e32 v107, v213
	v_pk_fma_f32 v[4:5], v[184:185], s[10:11], v[96:97] op_sel:[0,0,1] op_sel_hi:[1,0,0]
	v_pk_add_f32 v[66:67], v[106:107], v[66:67]
	v_mov_b32_e32 v96, v4
	v_mov_b32_e32 v97, v217
	v_pk_add_f32 v[188:189], v[100:101], v[98:99]
	v_pk_add_f32 v[100:101], v[98:99], v[100:101] neg_lo:[0,1] neg_hi:[0,1]
	s_mov_b32 s16, 0xbf763a35
	v_pk_add_f32 v[66:67], v[96:97], v[66:67]
	s_mov_b32 s14, 0xbe8c1d8e
	v_pk_mul_f32 v[96:97], v[100:101], s[16:17] op_sel_hi:[1,0]
	v_pk_add_f32 v[190:191], v[94:95], v[88:89]
	v_pk_add_f32 v[88:89], v[88:89], v[94:95] neg_lo:[0,1] neg_hi:[0,1]
	s_mov_b32 s22, 0xbf4c4adb
	v_accvgpr_write_b32 a119, v5
	v_pk_fma_f32 v[4:5], v[188:189], s[14:15], v[96:97] op_sel:[0,0,1] op_sel_hi:[1,0,0]
	v_pk_fma_f32 v[220:221], v[188:189], s[14:15], v[96:97] op_sel:[0,0,1] op_sel_hi:[1,0,0] neg_lo:[0,0,1] neg_hi:[0,0,1]
	s_mov_b32 s18, 0xbf1a4643
	v_pk_mul_f32 v[94:95], v[88:89], s[22:23] op_sel_hi:[1,0]
	v_pk_add_f32 v[174:175], v[92:93], v[90:91]
	v_pk_add_f32 v[90:91], v[90:91], v[92:93] neg_lo:[0,1] neg_hi:[0,1]
	s_mov_b32 s26, 0xbf06c442
	v_mov_b32_e32 v96, v4
	v_accvgpr_write_b32 a121, v5
	v_mov_b32_e32 v97, v221
	v_pk_fma_f32 v[4:5], v[190:191], s[18:19], v[94:95] op_sel:[0,0,1] op_sel_hi:[1,0,0]
	v_pk_fma_f32 v[224:225], v[190:191], s[18:19], v[94:95] op_sel:[0,0,1] op_sel_hi:[1,0,0] neg_lo:[0,0,1] neg_hi:[0,0,1]
	s_mov_b32 s24, 0xbf59a7d5
	v_pk_mul_f32 v[92:93], v[90:91], s[26:27] op_sel_hi:[1,0]
	v_pk_add_f32 v[194:195], v[84:85], v[86:87] neg_lo:[0,1] neg_hi:[0,1]
	s_mov_b32 s34, 0xbe3c28d5
	v_pk_add_f32 v[66:67], v[96:97], v[66:67]
	v_mov_b32_e32 v94, v4
	v_accvgpr_write_b32 a123, v5
	v_mov_b32_e32 v95, v225
	v_pk_fma_f32 v[4:5], v[174:175], s[24:25], v[92:93] op_sel:[0,0,1] op_sel_hi:[1,0,0]
	v_pk_fma_f32 v[228:229], v[174:175], s[24:25], v[92:93] op_sel:[0,0,1] op_sel_hi:[1,0,0] neg_lo:[0,0,1] neg_hi:[0,0,1]
	v_pk_add_f32 v[192:193], v[86:87], v[84:85]
	s_mov_b32 s30, 0xbf7ba420
	v_pk_mul_f32 v[84:85], v[194:195], s[34:35] op_sel_hi:[1,0]
	v_pk_add_f32 v[66:67], v[94:95], v[66:67]
	v_mov_b32_e32 v92, v4
	v_accvgpr_write_b32 a125, v5
	v_mov_b32_e32 v93, v229
	v_pk_fma_f32 v[4:5], v[192:193], s[30:31], v[84:85] op_sel:[0,0,1] op_sel_hi:[1,0,0]
	v_pk_fma_f32 v[232:233], v[192:193], s[30:31], v[84:85] op_sel:[0,0,1] op_sel_hi:[1,0,0] neg_lo:[0,0,1] neg_hi:[0,0,1]
	v_pk_add_f32 v[66:67], v[92:93], v[66:67]
	v_mov_b32_e32 v84, v4
	v_mov_b32_e32 v85, v233
	v_pk_add_f32 v[66:67], v[84:85], v[66:67]
	s_waitcnt lgkmcnt(0)
	; wave barrier
	ds_write2_b64 v144, v[112:113], v[66:67] offset1:1
	v_pk_mul_f32 v[66:67], v[82:83], s[36:37] op_sel_hi:[1,0]
	v_accvgpr_write_b32 a127, v5
	v_pk_fma_f32 v[4:5], v[64:65], s[0:1], v[66:67] op_sel:[0,0,1] op_sel_hi:[1,0,0]
	v_pk_fma_f32 v[236:237], v[64:65], s[0:1], v[66:67] op_sel:[0,0,1] op_sel_hi:[1,0,0] neg_lo:[0,0,1] neg_hi:[0,0,1]
	v_pk_mul_f32 v[84:85], v[104:105], s[28:29] op_sel_hi:[1,0]
	v_mov_b32_e32 v66, v4
	v_mov_b32_e32 v205, v5
	;; [unrolled: 1-line block ×3, first 2 shown]
	v_pk_fma_f32 v[4:5], v[178:179], s[10:11], v[84:85] op_sel:[0,0,1] op_sel_hi:[1,0,0]
	v_pk_fma_f32 v[240:241], v[178:179], s[10:11], v[84:85] op_sel:[0,0,1] op_sel_hi:[1,0,0] neg_lo:[0,0,1] neg_hi:[0,0,1]
	v_pk_add_f32 v[66:67], v[80:81], v[66:67]
	v_mov_b32_e32 v84, v4
	v_mov_b32_e32 v85, v241
	v_pk_add_f32 v[66:67], v[84:85], v[66:67]
	v_pk_mul_f32 v[84:85], v[182:183], s[22:23] op_sel_hi:[1,0]
	v_mov_b32_e32 v209, v5
	v_pk_fma_f32 v[4:5], v[110:111], s[18:19], v[84:85] op_sel:[0,0,1] op_sel_hi:[1,0,0]
	v_pk_fma_f32 v[244:245], v[110:111], s[18:19], v[84:85] op_sel:[0,0,1] op_sel_hi:[1,0,0] neg_lo:[0,0,1] neg_hi:[0,0,1]
	v_mov_b32_e32 v84, v4
	v_mov_b32_e32 v85, v245
	v_pk_add_f32 v[66:67], v[84:85], v[66:67]
	v_pk_mul_f32 v[84:85], v[102:103], s[34:35] op_sel_hi:[1,0]
	v_mov_b32_e32 v213, v5
	v_pk_fma_f32 v[4:5], v[184:185], s[30:31], v[84:85] op_sel:[0,0,1] op_sel_hi:[1,0,0]
	v_pk_fma_f32 v[248:249], v[184:185], s[30:31], v[84:85] op_sel:[0,0,1] op_sel_hi:[1,0,0] neg_lo:[0,0,1] neg_hi:[0,0,1]
	v_mov_b32_e32 v84, v4
	v_mov_b32_e32 v85, v249
	s_mov_b32 s50, 0x3f06c442
	v_pk_add_f32 v[66:67], v[84:85], v[66:67]
	v_pk_mul_f32 v[84:85], v[100:101], s[50:51] op_sel_hi:[1,0]
	v_mov_b32_e32 v217, v5
	v_pk_fma_f32 v[4:5], v[188:189], s[24:25], v[84:85] op_sel:[0,0,1] op_sel_hi:[1,0,0]
	v_pk_fma_f32 v[252:253], v[188:189], s[24:25], v[84:85] op_sel:[0,0,1] op_sel_hi:[1,0,0] neg_lo:[0,0,1] neg_hi:[0,0,1]
	v_mov_b32_e32 v84, v4
	v_mov_b32_e32 v85, v253
	s_mov_b32 s46, 0x3f763a35
	;; [unrolled: 8-line block ×4, first 2 shown]
	v_pk_add_f32 v[66:67], v[84:85], v[66:67]
	v_pk_mul_f32 v[84:85], v[194:195], s[40:41] op_sel_hi:[1,0]
	v_mov_b32_e32 v229, v5
	v_pk_fma_f32 v[4:5], v[192:193], s[12:13], v[84:85] op_sel:[0,0,1] op_sel_hi:[1,0,0]
	v_pk_fma_f32 v[164:165], v[192:193], s[12:13], v[84:85] op_sel:[0,0,1] op_sel_hi:[1,0,0] neg_lo:[0,0,1] neg_hi:[0,0,1]
	v_mov_b32_e32 v84, v4
	v_mov_b32_e32 v85, v165
	v_pk_add_f32 v[66:67], v[84:85], v[66:67]
	v_pk_mul_f32 v[84:85], v[82:83], s[44:45] op_sel_hi:[1,0]
	v_mov_b32_e32 v233, v5
	v_pk_fma_f32 v[4:5], v[64:65], s[8:9], v[84:85] op_sel:[0,0,1] op_sel_hi:[1,0,0]
	v_pk_fma_f32 v[168:169], v[64:65], s[8:9], v[84:85] op_sel:[0,0,1] op_sel_hi:[1,0,0] neg_lo:[0,0,1] neg_hi:[0,0,1]
	v_pk_mul_f32 v[86:87], v[104:105], s[22:23] op_sel_hi:[1,0]
	v_mov_b32_e32 v84, v4
	v_mov_b32_e32 v161, v5
	;; [unrolled: 1-line block ×3, first 2 shown]
	v_pk_fma_f32 v[4:5], v[178:179], s[18:19], v[86:87] op_sel:[0,0,1] op_sel_hi:[1,0,0]
	v_pk_fma_f32 v[172:173], v[178:179], s[18:19], v[86:87] op_sel:[0,0,1] op_sel_hi:[1,0,0] neg_lo:[0,0,1] neg_hi:[0,0,1]
	v_pk_add_f32 v[84:85], v[80:81], v[84:85]
	v_mov_b32_e32 v86, v4
	v_mov_b32_e32 v87, v173
	s_mov_b32 s54, 0x3e3c28d5
	v_pk_add_f32 v[84:85], v[86:87], v[84:85]
	v_pk_mul_f32 v[86:87], v[182:183], s[54:55] op_sel_hi:[1,0]
	v_mov_b32_e32 v165, v5
	v_pk_fma_f32 v[4:5], v[110:111], s[30:31], v[86:87] op_sel:[0,0,1] op_sel_hi:[1,0,0]
	v_pk_fma_f32 v[114:115], v[110:111], s[30:31], v[86:87] op_sel:[0,0,1] op_sel_hi:[1,0,0] neg_lo:[0,0,1] neg_hi:[0,0,1]
	v_mov_b32_e32 v86, v4
	v_mov_b32_e32 v87, v115
	v_pk_add_f32 v[84:85], v[86:87], v[84:85]
	v_pk_mul_f32 v[86:87], v[102:103], s[46:47] op_sel_hi:[1,0]
	v_mov_b32_e32 v237, v5
	v_pk_fma_f32 v[4:5], v[184:185], s[14:15], v[86:87] op_sel:[0,0,1] op_sel_hi:[1,0,0]
	v_pk_fma_f32 v[118:119], v[184:185], s[14:15], v[86:87] op_sel:[0,0,1] op_sel_hi:[1,0,0] neg_lo:[0,0,1] neg_hi:[0,0,1]
	v_mov_b32_e32 v86, v4
	v_mov_b32_e32 v87, v119
	s_mov_b32 s42, 0x3f2c7751
	v_pk_add_f32 v[84:85], v[86:87], v[84:85]
	v_pk_mul_f32 v[86:87], v[100:101], s[42:43] op_sel_hi:[1,0]
	v_mov_b32_e32 v241, v5
	v_pk_fma_f32 v[4:5], v[188:189], s[0:1], v[86:87] op_sel:[0,0,1] op_sel_hi:[1,0,0]
	v_pk_fma_f32 v[122:123], v[188:189], s[0:1], v[86:87] op_sel:[0,0,1] op_sel_hi:[1,0,0] neg_lo:[0,0,1] neg_hi:[0,0,1]
	v_mov_b32_e32 v86, v4
	v_mov_b32_e32 v87, v123
	v_pk_add_f32 v[84:85], v[86:87], v[84:85]
	v_pk_mul_f32 v[86:87], v[88:89], s[20:21] op_sel_hi:[1,0]
	v_mov_b32_e32 v245, v5
	v_pk_fma_f32 v[4:5], v[190:191], s[12:13], v[86:87] op_sel:[0,0,1] op_sel_hi:[1,0,0]
	v_pk_fma_f32 v[126:127], v[190:191], s[12:13], v[86:87] op_sel:[0,0,1] op_sel_hi:[1,0,0] neg_lo:[0,0,1] neg_hi:[0,0,1]
	v_mov_b32_e32 v86, v4
	v_mov_b32_e32 v87, v127
	;; [unrolled: 7-line block ×4, first 2 shown]
	v_pk_add_f32 v[84:85], v[86:87], v[84:85]
	ds_write2_b64 v144, v[66:67], v[84:85] offset0:2 offset1:3
	v_pk_mul_f32 v[66:67], v[82:83], s[28:29] op_sel_hi:[1,0]
	v_pk_mul_f32 v[84:85], v[104:105], s[34:35] op_sel_hi:[1,0]
	v_pk_fma_f32 v[136:137], v[64:65], s[10:11], v[66:67] op_sel:[0,0,1] op_sel_hi:[1,0,0]
	v_pk_fma_f32 v[134:135], v[64:65], s[10:11], v[66:67] op_sel:[0,0,1] op_sel_hi:[1,0,0] neg_lo:[0,0,1] neg_hi:[0,0,1]
	v_mov_b32_e32 v255, v5
	v_mov_b32_e32 v66, v136
	;; [unrolled: 1-line block ×3, first 2 shown]
	v_pk_fma_f32 v[4:5], v[178:179], s[30:31], v[84:85] op_sel:[0,0,1] op_sel_hi:[1,0,0]
	v_pk_fma_f32 v[142:143], v[178:179], s[30:31], v[84:85] op_sel:[0,0,1] op_sel_hi:[1,0,0] neg_lo:[0,0,1] neg_hi:[0,0,1]
	v_pk_add_f32 v[66:67], v[80:81], v[66:67]
	v_mov_b32_e32 v84, v4
	v_mov_b32_e32 v85, v143
	v_pk_add_f32 v[66:67], v[84:85], v[66:67]
	v_pk_mul_f32 v[84:85], v[182:183], s[46:47] op_sel_hi:[1,0]
	v_mov_b32_e32 v20, v144
	v_mov_b32_e32 v119, v5
	v_pk_fma_f32 v[4:5], v[110:111], s[14:15], v[84:85] op_sel:[0,0,1] op_sel_hi:[1,0,0]
	v_pk_fma_f32 v[144:145], v[110:111], s[14:15], v[84:85] op_sel:[0,0,1] op_sel_hi:[1,0,0] neg_lo:[0,0,1] neg_hi:[0,0,1]
	v_pk_mul_f32 v[86:87], v[102:103], s[40:41] op_sel_hi:[1,0]
	v_mov_b32_e32 v84, v4
	v_mov_b32_e32 v85, v145
	v_pk_fma_f32 v[140:141], v[184:185], s[12:13], v[86:87] op_sel:[0,0,1] op_sel_hi:[1,0,0]
	v_pk_fma_f32 v[150:151], v[184:185], s[12:13], v[86:87] op_sel:[0,0,1] op_sel_hi:[1,0,0] neg_lo:[0,0,1] neg_hi:[0,0,1]
	v_pk_add_f32 v[84:85], v[84:85], v[66:67]
	v_mov_b32_e32 v86, v140
	v_mov_b32_e32 v87, v151
	v_pk_add_f32 v[84:85], v[86:87], v[84:85]
	v_pk_mul_f32 v[86:87], v[100:101], s[44:45] op_sel_hi:[1,0]
	s_mov_b32 s52, 0x3f4c4adb
	v_pk_fma_f32 v[124:125], v[188:189], s[8:9], v[86:87] op_sel:[0,0,1] op_sel_hi:[1,0,0]
	v_pk_fma_f32 v[206:207], v[188:189], s[8:9], v[86:87] op_sel:[0,0,1] op_sel_hi:[1,0,0] neg_lo:[0,0,1] neg_hi:[0,0,1]
	v_mov_b32_e32 v86, v124
	v_mov_b32_e32 v87, v207
	v_pk_add_f32 v[84:85], v[86:87], v[84:85]
	v_pk_mul_f32 v[86:87], v[88:89], s[26:27] op_sel_hi:[1,0]
	v_pk_mul_f32 v[94:95], v[104:105], s[50:51] op_sel_hi:[1,0]
	v_pk_fma_f32 v[120:121], v[190:191], s[24:25], v[86:87] op_sel:[0,0,1] op_sel_hi:[1,0,0]
	v_pk_fma_f32 v[214:215], v[190:191], s[24:25], v[86:87] op_sel:[0,0,1] op_sel_hi:[1,0,0] neg_lo:[0,0,1] neg_hi:[0,0,1]
	v_mov_b32_e32 v86, v120
	v_mov_b32_e32 v87, v215
	v_pk_add_f32 v[84:85], v[86:87], v[84:85]
	v_pk_mul_f32 v[86:87], v[90:91], s[52:53] op_sel_hi:[1,0]
	v_pk_fma_f32 v[246:247], v[178:179], s[24:25], v[94:95] op_sel:[0,0,1] op_sel_hi:[1,0,0] neg_lo:[0,0,1] neg_hi:[0,0,1]
	v_pk_fma_f32 v[116:117], v[174:175], s[18:19], v[86:87] op_sel:[0,0,1] op_sel_hi:[1,0,0]
	v_pk_fma_f32 v[222:223], v[174:175], s[18:19], v[86:87] op_sel:[0,0,1] op_sel_hi:[1,0,0] neg_lo:[0,0,1] neg_hi:[0,0,1]
	v_mov_b32_e32 v86, v116
	v_mov_b32_e32 v87, v223
	v_pk_add_f32 v[84:85], v[86:87], v[84:85]
	v_pk_mul_f32 v[86:87], v[194:195], s[42:43] op_sel_hi:[1,0]
	s_mov_b32 s48, 0x3f7ee86f
	v_pk_fma_f32 v[234:235], v[192:193], s[0:1], v[86:87] op_sel:[0,0,1] op_sel_hi:[1,0,0]
	v_pk_fma_f32 v[230:231], v[192:193], s[0:1], v[86:87] op_sel:[0,0,1] op_sel_hi:[1,0,0] neg_lo:[0,0,1] neg_hi:[0,0,1]
	v_mov_b32_e32 v86, v234
	v_mov_b32_e32 v87, v231
	v_pk_add_f32 v[112:113], v[86:87], v[84:85]
	v_pk_mul_f32 v[84:85], v[82:83], s[16:17] op_sel_hi:[1,0]
	v_pk_mul_f32 v[170:171], v[90:91], s[34:35] op_sel_hi:[1,0]
	v_pk_fma_f32 v[250:251], v[64:65], s[14:15], v[84:85] op_sel:[0,0,1] op_sel_hi:[1,0,0]
	v_pk_fma_f32 v[86:87], v[64:65], s[14:15], v[84:85] op_sel:[0,0,1] op_sel_hi:[1,0,0] neg_lo:[0,0,1] neg_hi:[0,0,1]
	v_mov_b32_e32 v84, v250
	v_mov_b32_e32 v85, v87
	v_pk_add_f32 v[92:93], v[80:81], v[84:85]
	v_pk_fma_f32 v[84:85], v[178:179], s[24:25], v[94:95] op_sel:[0,0,1] op_sel_hi:[1,0,0]
	v_mov_b32_e32 v95, v247
	v_mov_b32_e32 v94, v84
	v_pk_add_f32 v[96:97], v[94:95], v[92:93]
	v_pk_mul_f32 v[94:95], v[182:183], s[42:43] op_sel_hi:[1,0]
	v_mov_b32_e32 v115, v5
	v_pk_fma_f32 v[92:93], v[110:111], s[0:1], v[94:95] op_sel:[0,0,1] op_sel_hi:[1,0,0]
	v_pk_fma_f32 v[94:95], v[110:111], s[0:1], v[94:95] op_sel:[0,0,1] op_sel_hi:[1,0,0] neg_lo:[0,0,1] neg_hi:[0,0,1]
	v_mov_b32_e32 v98, v92
	v_mov_b32_e32 v99, v95
	v_pk_add_f32 v[106:107], v[98:99], v[96:97]
	v_pk_mul_f32 v[98:99], v[102:103], s[44:45] op_sel_hi:[1,0]
	v_mov_b32_e32 v87, v251
	v_pk_fma_f32 v[96:97], v[184:185], s[8:9], v[98:99] op_sel:[0,0,1] op_sel_hi:[1,0,0]
	v_pk_fma_f32 v[98:99], v[184:185], s[8:9], v[98:99] op_sel:[0,0,1] op_sel_hi:[1,0,0] neg_lo:[0,0,1] neg_hi:[0,0,1]
	;; [unrolled: 7-line block ×6, first 2 shown]
	v_mov_b32_e32 v130, v66
	v_mov_b32_e32 v131, v239
	v_pk_add_f32 v[128:129], v[130:131], v[128:129]
	ds_write2_b64 v20, v[112:113], v[128:129] offset0:4 offset1:5
	v_pk_mul_f32 v[112:113], v[82:83], s[22:23] op_sel_hi:[1,0]
	v_pk_mul_f32 v[128:129], v[104:105], s[46:47] op_sel_hi:[1,0]
	v_pk_fma_f32 v[162:163], v[64:65], s[18:19], v[112:113] op_sel:[0,0,1] op_sel_hi:[1,0,0]
	v_pk_fma_f32 v[130:131], v[64:65], s[18:19], v[112:113] op_sel:[0,0,1] op_sel_hi:[1,0,0] neg_lo:[0,0,1] neg_hi:[0,0,1]
	v_mov_b32_e32 v112, v162
	v_mov_b32_e32 v113, v131
	v_pk_fma_f32 v[152:153], v[178:179], s[14:15], v[128:129] op_sel:[0,0,1] op_sel_hi:[1,0,0]
	v_pk_fma_f32 v[166:167], v[178:179], s[14:15], v[128:129] op_sel:[0,0,1] op_sel_hi:[1,0,0] neg_lo:[0,0,1] neg_hi:[0,0,1]
	v_pk_add_f32 v[112:113], v[80:81], v[112:113]
	v_mov_b32_e32 v128, v152
	v_mov_b32_e32 v129, v167
	v_pk_add_f32 v[112:113], v[128:129], v[112:113]
	v_pk_mul_f32 v[128:129], v[182:183], s[20:21] op_sel_hi:[1,0]
	v_mov_b32_e32 v131, v163
	v_pk_fma_f32 v[148:149], v[110:111], s[12:13], v[128:129] op_sel:[0,0,1] op_sel_hi:[1,0,0]
	v_pk_fma_f32 v[146:147], v[110:111], s[12:13], v[128:129] op_sel:[0,0,1] op_sel_hi:[1,0,0] neg_lo:[0,0,1] neg_hi:[0,0,1]
	v_mov_b32_e32 v128, v148
	v_mov_b32_e32 v129, v147
	v_pk_add_f32 v[112:113], v[128:129], v[112:113]
	v_pk_mul_f32 v[128:129], v[102:103], s[26:27] op_sel_hi:[1,0]
	v_mov_b32_e32 v167, v153
	v_pk_fma_f32 v[210:211], v[184:185], s[24:25], v[128:129] op_sel:[0,0,1] op_sel_hi:[1,0,0]
	v_pk_fma_f32 v[202:203], v[184:185], s[24:25], v[128:129] op_sel:[0,0,1] op_sel_hi:[1,0,0] neg_lo:[0,0,1] neg_hi:[0,0,1]
	;; [unrolled: 7-line block ×4, first 2 shown]
	v_mov_b32_e32 v128, v158
	v_mov_b32_e32 v129, v155
	v_pk_add_f32 v[128:129], v[128:129], v[112:113]
	v_pk_fma_f32 v[112:113], v[174:175], s[30:31], v[170:171] op_sel:[0,0,1] op_sel_hi:[1,0,0]
	v_pk_fma_f32 v[170:171], v[174:175], s[30:31], v[170:171] op_sel:[0,0,1] op_sel_hi:[1,0,0] neg_lo:[0,0,1] neg_hi:[0,0,1]
	v_mov_b32_e32 v196, v112
	v_mov_b32_e32 v197, v171
	v_pk_add_f32 v[242:243], v[196:197], v[128:129]
	v_pk_mul_f32 v[128:129], v[194:195], s[38:39] op_sel_hi:[1,0]
	v_mov_b32_e32 v219, v227
	v_pk_fma_f32 v[156:157], v[192:193], s[8:9], v[128:129] op_sel:[0,0,1] op_sel_hi:[1,0,0]
	v_pk_fma_f32 v[128:129], v[192:193], s[8:9], v[128:129] op_sel:[0,0,1] op_sel_hi:[1,0,0] neg_lo:[0,0,1] neg_hi:[0,0,1]
	v_mov_b32_e32 v196, v156
	v_mov_b32_e32 v197, v129
	v_pk_add_f32 v[196:197], v[196:197], v[242:243]
	v_pk_mul_f32 v[242:243], v[82:83], s[26:27] op_sel_hi:[1,0]
	v_mov_b32_e32 v155, v159
	;; [unrolled: 7-line block ×4, first 2 shown]
	v_pk_fma_f32 v[36:37], v[110:111], s[10:11], v[176:177] op_sel:[0,0,1] op_sel_hi:[1,0,0]
	v_pk_fma_f32 v[38:39], v[110:111], s[10:11], v[176:177] op_sel:[0,0,1] op_sel_hi:[1,0,0] neg_lo:[0,0,1] neg_hi:[0,0,1]
	v_mov_b32_e32 v176, v36
	v_mov_b32_e32 v177, v39
	v_pk_add_f32 v[78:79], v[176:177], v[78:79]
	v_pk_mul_f32 v[176:177], v[102:103], s[52:53] op_sel_hi:[1,0]
	v_pk_mul_f32 v[102:103], v[102:103], s[42:43] op_sel_hi:[1,0]
	v_pk_fma_f32 v[28:29], v[184:185], s[18:19], v[176:177] op_sel:[0,0,1] op_sel_hi:[1,0,0]
	v_pk_fma_f32 v[30:31], v[184:185], s[18:19], v[176:177] op_sel:[0,0,1] op_sel_hi:[1,0,0] neg_lo:[0,0,1] neg_hi:[0,0,1]
	v_mov_b32_e32 v176, v28
	v_mov_b32_e32 v177, v31
	v_pk_add_f32 v[78:79], v[176:177], v[78:79]
	v_pk_mul_f32 v[176:177], v[100:101], s[20:21] op_sel_hi:[1,0]
	v_pk_add_f32 v[32:33], v[80:81], v[242:243]
	v_pk_fma_f32 v[4:5], v[188:189], s[12:13], v[176:177] op_sel:[0,0,1] op_sel_hi:[1,0,0]
	v_pk_fma_f32 v[6:7], v[188:189], s[12:13], v[176:177] op_sel:[0,0,1] op_sel_hi:[1,0,0] neg_lo:[0,0,1] neg_hi:[0,0,1]
	v_mov_b32_e32 v176, v4
	v_mov_b32_e32 v177, v7
	v_pk_add_f32 v[78:79], v[176:177], v[78:79]
	v_pk_mul_f32 v[176:177], v[88:89], s[34:35] op_sel_hi:[1,0]
	v_pk_add_f32 v[32:33], v[34:35], v[32:33]
	v_pk_fma_f32 v[8:9], v[190:191], s[30:31], v[176:177] op_sel:[0,0,1] op_sel_hi:[1,0,0]
	v_pk_fma_f32 v[10:11], v[190:191], s[30:31], v[176:177] op_sel:[0,0,1] op_sel_hi:[1,0,0] neg_lo:[0,0,1] neg_hi:[0,0,1]
	v_mov_b32_e32 v176, v8
	v_mov_b32_e32 v177, v11
	v_pk_add_f32 v[78:79], v[176:177], v[78:79]
	v_pk_mul_f32 v[176:177], v[90:91], s[42:43] op_sel_hi:[1,0]
	v_mov_b32_e32 v39, v37
	v_pk_fma_f32 v[12:13], v[174:175], s[0:1], v[176:177] op_sel:[0,0,1] op_sel_hi:[1,0,0]
	v_pk_fma_f32 v[14:15], v[174:175], s[0:1], v[176:177] op_sel:[0,0,1] op_sel_hi:[1,0,0] neg_lo:[0,0,1] neg_hi:[0,0,1]
	v_mov_b32_e32 v176, v12
	v_mov_b32_e32 v177, v15
	v_pk_add_f32 v[78:79], v[176:177], v[78:79]
	v_pk_mul_f32 v[176:177], v[194:195], s[16:17] op_sel_hi:[1,0]
	v_pk_mul_f32 v[100:101], v[100:101], s[22:23] op_sel_hi:[1,0]
	v_pk_fma_f32 v[16:17], v[192:193], s[14:15], v[176:177] op_sel:[0,0,1] op_sel_hi:[1,0,0]
	v_pk_fma_f32 v[18:19], v[192:193], s[14:15], v[176:177] op_sel:[0,0,1] op_sel_hi:[1,0,0] neg_lo:[0,0,1] neg_hi:[0,0,1]
	v_mov_b32_e32 v176, v16
	v_mov_b32_e32 v177, v19
	v_pk_add_f32 v[78:79], v[176:177], v[78:79]
	ds_write2_b64 v20, v[196:197], v[78:79] offset0:6 offset1:7
	v_pk_mul_f32 v[78:79], v[82:83], s[34:35] op_sel_hi:[1,0]
	v_pk_add_f32 v[32:33], v[38:39], v[32:33]
	v_pk_fma_f32 v[82:83], v[64:65], s[30:31], v[78:79] op_sel:[0,0,1] op_sel_hi:[1,0,0]
	v_pk_fma_f32 v[64:65], v[64:65], s[30:31], v[78:79] op_sel:[0,0,1] op_sel_hi:[1,0,0] neg_lo:[0,0,1] neg_hi:[0,0,1]
	v_pk_mul_f32 v[78:79], v[104:105], s[40:41] op_sel_hi:[1,0]
	v_mov_b32_e32 v176, v82
	v_pk_fma_f32 v[104:105], v[178:179], s[12:13], v[78:79] op_sel:[0,0,1] op_sel_hi:[1,0,0]
	v_pk_fma_f32 v[78:79], v[178:179], s[12:13], v[78:79] op_sel:[0,0,1] op_sel_hi:[1,0,0] neg_lo:[0,0,1] neg_hi:[0,0,1]
	v_mov_b32_e32 v177, v65
	v_pk_add_f32 v[176:177], v[80:81], v[176:177]
	v_mov_b32_e32 v178, v104
	v_mov_b32_e32 v179, v79
	v_pk_add_f32 v[176:177], v[178:179], v[176:177]
	v_pk_mul_f32 v[178:179], v[182:183], s[26:27] op_sel_hi:[1,0]
	v_mov_b32_e32 v31, v29
	v_pk_fma_f32 v[182:183], v[110:111], s[24:25], v[178:179] op_sel:[0,0,1] op_sel_hi:[1,0,0]
	v_pk_fma_f32 v[110:111], v[110:111], s[24:25], v[178:179] op_sel:[0,0,1] op_sel_hi:[1,0,0] neg_lo:[0,0,1] neg_hi:[0,0,1]
	v_mov_b32_e32 v178, v182
	v_mov_b32_e32 v179, v111
	v_pk_add_f32 v[176:177], v[178:179], v[176:177]
	v_pk_fma_f32 v[178:179], v[184:185], s[0:1], v[102:103] op_sel:[0,0,1] op_sel_hi:[1,0,0]
	v_pk_fma_f32 v[102:103], v[184:185], s[0:1], v[102:103] op_sel:[0,0,1] op_sel_hi:[1,0,0] neg_lo:[0,0,1] neg_hi:[0,0,1]
	v_mov_b32_e32 v184, v178
	v_mov_b32_e32 v185, v103
	v_pk_add_f32 v[176:177], v[184:185], v[176:177]
	v_pk_fma_f32 v[184:185], v[188:189], s[18:19], v[100:101] op_sel:[0,0,1] op_sel_hi:[1,0,0]
	v_pk_fma_f32 v[100:101], v[188:189], s[18:19], v[100:101] op_sel:[0,0,1] op_sel_hi:[1,0,0] neg_lo:[0,0,1] neg_hi:[0,0,1]
	v_pk_add_f32 v[28:29], v[30:31], v[32:33]
	v_mov_b32_e32 v7, v5
	v_mov_b32_e32 v188, v184
	;; [unrolled: 1-line block ×3, first 2 shown]
	v_pk_mul_f32 v[88:89], v[88:89], s[38:39] op_sel_hi:[1,0]
	v_mov_b32_e32 v65, v83
	v_pk_add_f32 v[4:5], v[6:7], v[28:29]
	v_pk_add_f32 v[6:7], v[80:81], v[130:131]
	v_pk_add_f32 v[176:177], v[188:189], v[176:177]
	v_pk_fma_f32 v[188:189], v[190:191], s[8:9], v[88:89] op_sel:[0,0,1] op_sel_hi:[1,0,0]
	v_pk_fma_f32 v[88:89], v[190:191], s[8:9], v[88:89] op_sel:[0,0,1] op_sel_hi:[1,0,0] neg_lo:[0,0,1] neg_hi:[0,0,1]
	v_mov_b32_e32 v79, v105
	v_pk_add_f32 v[64:65], v[80:81], v[64:65]
	v_pk_add_f32 v[6:7], v[166:167], v[6:7]
	v_mov_b32_e32 v190, v188
	v_mov_b32_e32 v191, v89
	v_pk_mul_f32 v[90:91], v[90:91], s[16:17] op_sel_hi:[1,0]
	v_pk_add_f32 v[64:65], v[78:79], v[64:65]
	v_mov_b32_e32 v111, v183
	v_pk_add_f32 v[6:7], v[146:147], v[6:7]
	v_pk_add_f32 v[176:177], v[190:191], v[176:177]
	v_pk_fma_f32 v[190:191], v[174:175], s[14:15], v[90:91] op_sel:[0,0,1] op_sel_hi:[1,0,0]
	v_pk_fma_f32 v[90:91], v[174:175], s[14:15], v[90:91] op_sel:[0,0,1] op_sel_hi:[1,0,0] neg_lo:[0,0,1] neg_hi:[0,0,1]
	v_pk_add_f32 v[64:65], v[110:111], v[64:65]
	v_mov_b32_e32 v103, v179
	v_pk_add_f32 v[6:7], v[202:203], v[6:7]
	v_mov_b32_e32 v174, v190
	v_mov_b32_e32 v175, v91
	v_pk_add_f32 v[64:65], v[102:103], v[64:65]
	v_mov_b32_e32 v101, v185
	v_mov_b32_e32 v11, v9
	v_pk_add_f32 v[6:7], v[218:219], v[6:7]
	v_pk_add_f32 v[174:175], v[174:175], v[176:177]
	v_pk_mul_f32 v[176:177], v[194:195], s[48:49] op_sel_hi:[1,0]
	v_pk_add_f32 v[64:65], v[100:101], v[64:65]
	v_mov_b32_e32 v89, v189
	v_pk_add_f32 v[4:5], v[10:11], v[4:5]
	v_mov_b32_e32 v15, v13
	;; [unrolled: 2-line block ×3, first 2 shown]
	v_pk_fma_f32 v[194:195], v[192:193], s[10:11], v[176:177] op_sel:[0,0,1] op_sel_hi:[1,0,0]
	v_pk_fma_f32 v[176:177], v[192:193], s[10:11], v[176:177] op_sel:[0,0,1] op_sel_hi:[1,0,0] neg_lo:[0,0,1] neg_hi:[0,0,1]
	v_pk_add_f32 v[64:65], v[88:89], v[64:65]
	v_mov_b32_e32 v91, v191
	v_pk_add_f32 v[4:5], v[14:15], v[4:5]
	v_mov_b32_e32 v19, v17
	;; [unrolled: 2-line block ×3, first 2 shown]
	v_mov_b32_e32 v192, v194
	v_mov_b32_e32 v193, v177
	v_pk_add_f32 v[64:65], v[90:91], v[64:65]
	v_mov_b32_e32 v177, v195
	v_pk_add_f32 v[4:5], v[18:19], v[4:5]
	v_pk_add_f32 v[6:7], v[128:129], v[6:7]
	;; [unrolled: 1-line block ×4, first 2 shown]
	ds_write2_b64 v20, v[4:5], v[6:7] offset0:10 offset1:11
	v_accvgpr_read_b32 v6, a107
	ds_write2_b64 v20, v[174:175], v[64:65] offset0:8 offset1:9
	v_pk_add_f32 v[4:5], v[80:81], v[86:87]
	v_add_u32_e32 v65, 0x88, v6
	v_add_u32_e32 v64, 0x110, v6
	v_pk_add_f32 v[6:7], v[80:81], v[134:135]
	v_pk_add_f32 v[4:5], v[246:247], v[4:5]
	;; [unrolled: 1-line block ×3, first 2 shown]
	v_mov_b32_e32 v145, v115
	v_pk_add_f32 v[4:5], v[94:95], v[4:5]
	v_mov_b32_e32 v99, v97
	v_pk_add_f32 v[6:7], v[144:145], v[6:7]
	;; [unrolled: 2-line block ×11, first 2 shown]
	v_pk_add_f32 v[6:7], v[230:231], v[6:7]
	v_mov_b32_e32 v169, v161
	v_mov_b32_e32 v115, v237
	v_mov_b32_e32 v237, v205
	ds_write2_b64 v20, v[4:5], v[6:7] offset0:12 offset1:13
	v_pk_add_f32 v[4:5], v[80:81], v[168:169]
	v_mov_b32_e32 v173, v165
	v_mov_b32_e32 v119, v241
	v_pk_add_f32 v[6:7], v[80:81], v[236:237]
	v_mov_b32_e32 v241, v209
	v_pk_add_f32 v[4:5], v[172:173], v[4:5]
	;; [unrolled: 2-line block ×10, first 2 shown]
	v_pk_add_f32 v[6:7], v[254:255], v[6:7]
	v_mov_b32_e32 v161, v229
	v_pk_add_f32 v[4:5], v[132:133], v[4:5]
	v_pk_add_f32 v[6:7], v[160:161], v[6:7]
	v_mov_b32_e32 v165, v233
	v_pk_add_f32 v[4:5], v[138:139], v[4:5]
	v_pk_add_f32 v[6:7], v[164:165], v[6:7]
	v_mov_b32_e32 v205, v21
	ds_write2_b64 v20, v[4:5], v[6:7] offset0:14 offset1:15
	v_pk_add_f32 v[4:5], v[80:81], v[204:205]
	v_mov_b32_e32 v209, v23
	v_pk_add_f32 v[4:5], v[208:209], v[4:5]
	v_accvgpr_read_b32 v213, a117
	v_pk_add_f32 v[4:5], v[212:213], v[4:5]
	v_accvgpr_read_b32 v217, a119
	;; [unrolled: 2-line block ×4, first 2 shown]
	v_accvgpr_read_b32 v32, a68
	v_accvgpr_read_b32 v16, a64
	;; [unrolled: 1-line block ×7, first 2 shown]
	v_pk_add_f32 v[4:5], v[224:225], v[4:5]
	v_accvgpr_read_b32 v229, a125
	v_accvgpr_read_b32 v33, a69
	;; [unrolled: 1-line block ×18, first 2 shown]
	v_pk_add_f32 v[4:5], v[228:229], v[4:5]
	v_accvgpr_read_b32 v233, a127
	v_mov_b32_e32 v88, v0
	v_mov_b32_e32 v89, v0
	;; [unrolled: 1-line block ×84, first 2 shown]
	v_pk_add_f32 v[4:5], v[232:233], v[4:5]
	ds_write_b64 v20, v[4:5] offset:128
	s_and_saveexec_b64 s[56:57], vcc
	s_cbranch_execz .LBB0_13
; %bb.12:
	v_accvgpr_write_b32 a70, v64
	v_accvgpr_write_b32 a71, v65
	v_accvgpr_read_b32 v64, a110
	v_accvgpr_read_b32 v76, a112
	;; [unrolled: 1-line block ×6, first 2 shown]
	v_pk_add_f32 v[4:5], v[76:77], v[64:65]
	v_accvgpr_read_b32 v30, a100
	v_pk_add_f32 v[4:5], v[78:79], v[4:5]
	v_accvgpr_read_b32 v31, a101
	;; [unrolled: 2-line block ×10, first 2 shown]
	v_accvgpr_read_b32 v20, a94
	v_pk_add_f32 v[4:5], v[22:23], v[4:5]
	v_accvgpr_read_b32 v21, a95
	v_accvgpr_read_b32 v10, a92
	;; [unrolled: 1-line block ×4, first 2 shown]
	v_pk_add_f32 v[4:5], v[20:21], v[4:5]
	v_accvgpr_read_b32 v11, a93
	v_accvgpr_read_b32 v8, a90
	;; [unrolled: 1-line block ×3, first 2 shown]
	v_lshl_add_u32 v82, v7, 3, v6
	v_pk_add_f32 v[4:5], v[10:11], v[4:5]
	v_accvgpr_read_b32 v9, a91
	v_accvgpr_read_b32 v6, a88
	;; [unrolled: 1-line block ×3, first 2 shown]
	v_pk_add_f32 v[4:5], v[8:9], v[4:5]
	v_accvgpr_read_b32 v7, a89
	v_pk_add_f32 v[174:175], v[76:77], v[66:67] neg_lo:[0,1] neg_hi:[0,1]
	v_accvgpr_write_b32 a88, v162
	v_pk_add_f32 v[4:5], v[6:7], v[4:5]
	v_pk_add_f32 v[166:167], v[66:67], v[76:77]
	;; [unrolled: 1-line block ×3, first 2 shown]
	v_accvgpr_write_b32 a89, v163
	v_pk_add_f32 v[162:163], v[78:79], v[6:7] neg_lo:[0,1] neg_hi:[0,1]
	v_pk_mul_f32 v[6:7], v[174:175], s[20:21] op_sel_hi:[1,0]
	v_pk_add_f32 v[250:251], v[8:9], v[68:69]
	v_pk_add_f32 v[252:253], v[68:69], v[8:9] neg_lo:[0,1] neg_hi:[0,1]
	v_pk_fma_f32 v[8:9], v[166:167], s[12:13], v[6:7] op_sel:[0,0,1] op_sel_hi:[1,0,0]
	v_pk_fma_f32 v[68:69], v[166:167], s[12:13], v[6:7] op_sel:[0,0,1] op_sel_hi:[1,0,0] neg_lo:[0,0,1] neg_hi:[0,0,1]
	v_mov_b32_e32 v6, v8
	v_accvgpr_write_b32 a21, v9
	v_pk_mul_f32 v[8:9], v[162:163], s[36:37] op_sel_hi:[1,0]
	v_pk_add_f32 v[246:247], v[10:11], v[70:71]
	v_pk_add_f32 v[248:249], v[70:71], v[10:11] neg_lo:[0,1] neg_hi:[0,1]
	v_pk_add_f32 v[240:241], v[20:21], v[72:73]
	v_pk_add_f32 v[244:245], v[72:73], v[20:21] neg_lo:[0,1] neg_hi:[0,1]
	v_mov_b32_e32 v7, v69
	v_pk_fma_f32 v[10:11], v[254:255], s[0:1], v[8:9] op_sel:[0,0,1] op_sel_hi:[1,0,0]
	v_pk_fma_f32 v[72:73], v[254:255], s[0:1], v[8:9] op_sel:[0,0,1] op_sel_hi:[1,0,0] neg_lo:[0,0,1] neg_hi:[0,0,1]
	v_pk_add_f32 v[6:7], v[64:65], v[6:7]
	v_mov_b32_e32 v8, v10
	v_mov_b32_e32 v9, v73
	v_pk_add_f32 v[6:7], v[8:9], v[6:7]
	v_pk_mul_f32 v[8:9], v[252:253], s[44:45] op_sel_hi:[1,0]
	v_accvgpr_write_b32 a91, v11
	v_pk_fma_f32 v[10:11], v[250:251], s[8:9], v[8:9] op_sel:[0,0,1] op_sel_hi:[1,0,0]
	v_pk_fma_f32 v[76:77], v[250:251], s[8:9], v[8:9] op_sel:[0,0,1] op_sel_hi:[1,0,0] neg_lo:[0,0,1] neg_hi:[0,0,1]
	v_mov_b32_e32 v8, v10
	v_mov_b32_e32 v9, v77
	v_pk_add_f32 v[6:7], v[8:9], v[6:7]
	v_pk_mul_f32 v[8:9], v[248:249], s[28:29] op_sel_hi:[1,0]
	v_accvgpr_write_b32 a93, v11
	v_pk_fma_f32 v[10:11], v[246:247], s[10:11], v[8:9] op_sel:[0,0,1] op_sel_hi:[1,0,0]
	v_pk_fma_f32 v[80:81], v[246:247], s[10:11], v[8:9] op_sel:[0,0,1] op_sel_hi:[1,0,0] neg_lo:[0,0,1] neg_hi:[0,0,1]
	v_mov_b32_e32 v8, v10
	v_mov_b32_e32 v9, v81
	v_pk_add_f32 v[6:7], v[8:9], v[6:7]
	v_pk_mul_f32 v[8:9], v[244:245], s[16:17] op_sel_hi:[1,0]
	v_accvgpr_write_b32 a95, v11
	v_pk_fma_f32 v[10:11], v[240:241], s[14:15], v[8:9] op_sel:[0,0,1] op_sel_hi:[1,0,0]
	v_pk_fma_f32 v[116:117], v[240:241], s[14:15], v[8:9] op_sel:[0,0,1] op_sel_hi:[1,0,0] neg_lo:[0,0,1] neg_hi:[0,0,1]
	v_pk_add_f32 v[238:239], v[74:75], v[22:23] neg_lo:[0,1] neg_hi:[0,1]
	v_mov_b32_e32 v8, v10
	v_mov_b32_e32 v9, v117
	v_pk_add_f32 v[236:237], v[22:23], v[74:75]
	v_pk_add_f32 v[6:7], v[8:9], v[6:7]
	v_pk_mul_f32 v[8:9], v[238:239], s[22:23] op_sel_hi:[1,0]
	v_accvgpr_write_b32 a97, v11
	v_pk_fma_f32 v[10:11], v[236:237], s[18:19], v[8:9] op_sel:[0,0,1] op_sel_hi:[1,0,0]
	v_pk_fma_f32 v[120:121], v[236:237], s[18:19], v[8:9] op_sel:[0,0,1] op_sel_hi:[1,0,0] neg_lo:[0,0,1] neg_hi:[0,0,1]
	v_pk_add_f32 v[234:235], v[30:31], v[28:29] neg_lo:[0,1] neg_hi:[0,1]
	v_mov_b32_e32 v8, v10
	v_mov_b32_e32 v9, v121
	v_pk_add_f32 v[232:233], v[28:29], v[30:31]
	v_pk_add_f32 v[6:7], v[8:9], v[6:7]
	v_pk_mul_f32 v[8:9], v[234:235], s[26:27] op_sel_hi:[1,0]
	v_accvgpr_write_b32 a99, v11
	v_pk_fma_f32 v[10:11], v[232:233], s[24:25], v[8:9] op_sel:[0,0,1] op_sel_hi:[1,0,0]
	v_pk_fma_f32 v[124:125], v[232:233], s[24:25], v[8:9] op_sel:[0,0,1] op_sel_hi:[1,0,0] neg_lo:[0,0,1] neg_hi:[0,0,1]
	v_pk_add_f32 v[230:231], v[36:37], v[38:39] neg_lo:[0,1] neg_hi:[0,1]
	v_mov_b32_e32 v8, v10
	v_mov_b32_e32 v9, v125
	v_pk_add_f32 v[228:229], v[38:39], v[36:37]
	v_pk_add_f32 v[6:7], v[8:9], v[6:7]
	v_pk_mul_f32 v[8:9], v[230:231], s[34:35] op_sel_hi:[1,0]
	v_accvgpr_write_b32 a56, v152
	v_accvgpr_write_b32 a101, v11
	v_pk_fma_f32 v[10:11], v[228:229], s[30:31], v[8:9] op_sel:[0,0,1] op_sel_hi:[1,0,0]
	v_accvgpr_write_b32 a57, v153
	v_accvgpr_write_b32 a58, v154
	;; [unrolled: 1-line block ×3, first 2 shown]
	v_pk_fma_f32 v[154:155], v[228:229], s[30:31], v[8:9] op_sel:[0,0,1] op_sel_hi:[1,0,0] neg_lo:[0,0,1] neg_hi:[0,0,1]
	v_mov_b32_e32 v8, v10
	v_mov_b32_e32 v9, v155
	v_pk_add_f32 v[4:5], v[66:67], v[4:5]
	v_pk_add_f32 v[6:7], v[8:9], v[6:7]
	ds_write2_b64 v82, v[4:5], v[6:7] offset1:1
	v_pk_mul_f32 v[4:5], v[174:175], s[36:37] op_sel_hi:[1,0]
	v_mov_b64_e32 v[20:21], v[146:147]
	v_pk_fma_f32 v[6:7], v[166:167], s[0:1], v[4:5] op_sel:[0,0,1] op_sel_hi:[1,0,0]
	v_pk_fma_f32 v[134:135], v[166:167], s[0:1], v[4:5] op_sel:[0,0,1] op_sel_hi:[1,0,0] neg_lo:[0,0,1] neg_hi:[0,0,1]
	v_mov_b32_e32 v4, v6
	v_mov_b32_e32 v69, v7
	v_pk_mul_f32 v[6:7], v[162:163], s[28:29] op_sel_hi:[1,0]
	v_mov_b32_e32 v5, v135
	v_pk_fma_f32 v[8:9], v[254:255], s[10:11], v[6:7] op_sel:[0,0,1] op_sel_hi:[1,0,0]
	v_pk_fma_f32 v[138:139], v[254:255], s[10:11], v[6:7] op_sel:[0,0,1] op_sel_hi:[1,0,0] neg_lo:[0,0,1] neg_hi:[0,0,1]
	v_pk_add_f32 v[4:5], v[64:65], v[4:5]
	v_mov_b32_e32 v6, v8
	v_mov_b32_e32 v7, v139
	v_pk_add_f32 v[4:5], v[6:7], v[4:5]
	v_pk_mul_f32 v[6:7], v[252:253], s[22:23] op_sel_hi:[1,0]
	v_mov_b32_e32 v73, v9
	v_pk_fma_f32 v[8:9], v[250:251], s[18:19], v[6:7] op_sel:[0,0,1] op_sel_hi:[1,0,0]
	v_pk_fma_f32 v[142:143], v[250:251], s[18:19], v[6:7] op_sel:[0,0,1] op_sel_hi:[1,0,0] neg_lo:[0,0,1] neg_hi:[0,0,1]
	v_mov_b32_e32 v6, v8
	v_mov_b32_e32 v7, v143
	v_pk_add_f32 v[4:5], v[6:7], v[4:5]
	v_pk_mul_f32 v[6:7], v[248:249], s[34:35] op_sel_hi:[1,0]
	v_mov_b32_e32 v77, v9
	v_pk_fma_f32 v[8:9], v[246:247], s[30:31], v[6:7] op_sel:[0,0,1] op_sel_hi:[1,0,0]
	v_mov_b64_e32 v[22:23], v[148:149]
	v_pk_fma_f32 v[146:147], v[246:247], s[30:31], v[6:7] op_sel:[0,0,1] op_sel_hi:[1,0,0] neg_lo:[0,0,1] neg_hi:[0,0,1]
	v_mov_b32_e32 v6, v8
	v_mov_b32_e32 v7, v147
	v_pk_add_f32 v[4:5], v[6:7], v[4:5]
	v_pk_mul_f32 v[6:7], v[244:245], s[50:51] op_sel_hi:[1,0]
	v_mov_b32_e32 v81, v9
	v_pk_fma_f32 v[8:9], v[240:241], s[24:25], v[6:7] op_sel:[0,0,1] op_sel_hi:[1,0,0]
	v_pk_fma_f32 v[150:151], v[240:241], s[24:25], v[6:7] op_sel:[0,0,1] op_sel_hi:[1,0,0] neg_lo:[0,0,1] neg_hi:[0,0,1]
	v_mov_b32_e32 v6, v8
	v_mov_b32_e32 v7, v151
	v_pk_add_f32 v[4:5], v[6:7], v[4:5]
	v_pk_mul_f32 v[6:7], v[238:239], s[46:47] op_sel_hi:[1,0]
	v_mov_b32_e32 v117, v9
	v_pk_fma_f32 v[8:9], v[236:237], s[14:15], v[6:7] op_sel:[0,0,1] op_sel_hi:[1,0,0]
	;; [unrolled: 7-line block ×5, first 2 shown]
	v_pk_fma_f32 v[172:173], v[166:167], s[8:9], v[6:7] op_sel:[0,0,1] op_sel_hi:[1,0,0] neg_lo:[0,0,1] neg_hi:[0,0,1]
	v_mov_b32_e32 v6, v8
	v_mov_b32_e32 v135, v9
	v_pk_mul_f32 v[8:9], v[162:163], s[22:23] op_sel_hi:[1,0]
	v_accvgpr_write_b32 a103, v11
	v_mov_b32_e32 v7, v173
	v_pk_fma_f32 v[10:11], v[254:255], s[18:19], v[8:9] op_sel:[0,0,1] op_sel_hi:[1,0,0]
	v_pk_fma_f32 v[202:203], v[254:255], s[18:19], v[8:9] op_sel:[0,0,1] op_sel_hi:[1,0,0] neg_lo:[0,0,1] neg_hi:[0,0,1]
	v_pk_add_f32 v[6:7], v[64:65], v[6:7]
	v_mov_b32_e32 v8, v10
	v_mov_b32_e32 v9, v203
	v_pk_add_f32 v[6:7], v[8:9], v[6:7]
	v_pk_mul_f32 v[8:9], v[252:253], s[54:55] op_sel_hi:[1,0]
	v_mov_b32_e32 v139, v11
	v_pk_fma_f32 v[10:11], v[250:251], s[30:31], v[8:9] op_sel:[0,0,1] op_sel_hi:[1,0,0]
	v_pk_fma_f32 v[206:207], v[250:251], s[30:31], v[8:9] op_sel:[0,0,1] op_sel_hi:[1,0,0] neg_lo:[0,0,1] neg_hi:[0,0,1]
	v_mov_b32_e32 v8, v10
	v_mov_b32_e32 v9, v207
	v_pk_add_f32 v[6:7], v[8:9], v[6:7]
	v_pk_mul_f32 v[8:9], v[248:249], s[46:47] op_sel_hi:[1,0]
	v_mov_b32_e32 v143, v11
	v_pk_fma_f32 v[10:11], v[246:247], s[14:15], v[8:9] op_sel:[0,0,1] op_sel_hi:[1,0,0]
	v_pk_fma_f32 v[210:211], v[246:247], s[14:15], v[8:9] op_sel:[0,0,1] op_sel_hi:[1,0,0] neg_lo:[0,0,1] neg_hi:[0,0,1]
	v_mov_b32_e32 v8, v10
	v_mov_b32_e32 v9, v211
	v_pk_add_f32 v[6:7], v[8:9], v[6:7]
	v_pk_mul_f32 v[8:9], v[244:245], s[42:43] op_sel_hi:[1,0]
	v_mov_b32_e32 v147, v11
	v_pk_fma_f32 v[10:11], v[240:241], s[0:1], v[8:9] op_sel:[0,0,1] op_sel_hi:[1,0,0]
	v_pk_fma_f32 v[214:215], v[240:241], s[0:1], v[8:9] op_sel:[0,0,1] op_sel_hi:[1,0,0] neg_lo:[0,0,1] neg_hi:[0,0,1]
	v_mov_b32_e32 v8, v10
	v_mov_b32_e32 v9, v215
	v_pk_add_f32 v[6:7], v[8:9], v[6:7]
	v_pk_mul_f32 v[8:9], v[238:239], s[20:21] op_sel_hi:[1,0]
	v_mov_b32_e32 v151, v11
	v_pk_fma_f32 v[10:11], v[236:237], s[12:13], v[8:9] op_sel:[0,0,1] op_sel_hi:[1,0,0]
	v_pk_fma_f32 v[218:219], v[236:237], s[12:13], v[8:9] op_sel:[0,0,1] op_sel_hi:[1,0,0] neg_lo:[0,0,1] neg_hi:[0,0,1]
	v_mov_b32_e32 v8, v10
	v_mov_b32_e32 v9, v219
	v_pk_add_f32 v[6:7], v[8:9], v[6:7]
	v_pk_mul_f32 v[8:9], v[234:235], s[28:29] op_sel_hi:[1,0]
	v_mov_b32_e32 v161, v11
	v_pk_fma_f32 v[10:11], v[232:233], s[10:11], v[8:9] op_sel:[0,0,1] op_sel_hi:[1,0,0]
	v_pk_fma_f32 v[222:223], v[232:233], s[10:11], v[8:9] op_sel:[0,0,1] op_sel_hi:[1,0,0] neg_lo:[0,0,1] neg_hi:[0,0,1]
	v_mov_b32_e32 v8, v10
	v_mov_b32_e32 v9, v223
	v_pk_add_f32 v[6:7], v[8:9], v[6:7]
	v_pk_mul_f32 v[8:9], v[230:231], s[26:27] op_sel_hi:[1,0]
	v_mov_b32_e32 v165, v11
	v_pk_fma_f32 v[10:11], v[228:229], s[24:25], v[8:9] op_sel:[0,0,1] op_sel_hi:[1,0,0]
	v_pk_fma_f32 v[226:227], v[228:229], s[24:25], v[8:9] op_sel:[0,0,1] op_sel_hi:[1,0,0] neg_lo:[0,0,1] neg_hi:[0,0,1]
	v_mov_b32_e32 v8, v10
	v_mov_b32_e32 v9, v227
	v_pk_add_f32 v[6:7], v[8:9], v[6:7]
	ds_write2_b64 v82, v[4:5], v[6:7] offset0:2 offset1:3
	v_pk_mul_f32 v[4:5], v[174:175], s[28:29] op_sel_hi:[1,0]
	v_mov_b32_e32 v169, v11
	v_pk_fma_f32 v[6:7], v[166:167], s[10:11], v[4:5] op_sel:[0,0,1] op_sel_hi:[1,0,0]
	v_pk_fma_f32 v[66:67], v[166:167], s[10:11], v[4:5] op_sel:[0,0,1] op_sel_hi:[1,0,0] neg_lo:[0,0,1] neg_hi:[0,0,1]
	v_mov_b32_e32 v4, v6
	v_mov_b32_e32 v173, v7
	v_pk_mul_f32 v[6:7], v[162:163], s[34:35] op_sel_hi:[1,0]
	v_mov_b32_e32 v5, v67
	v_pk_fma_f32 v[8:9], v[254:255], s[30:31], v[6:7] op_sel:[0,0,1] op_sel_hi:[1,0,0]
	v_pk_fma_f32 v[70:71], v[254:255], s[30:31], v[6:7] op_sel:[0,0,1] op_sel_hi:[1,0,0] neg_lo:[0,0,1] neg_hi:[0,0,1]
	v_pk_add_f32 v[4:5], v[64:65], v[4:5]
	v_mov_b32_e32 v6, v8
	v_mov_b32_e32 v7, v71
	v_pk_add_f32 v[4:5], v[6:7], v[4:5]
	v_pk_mul_f32 v[6:7], v[252:253], s[46:47] op_sel_hi:[1,0]
	v_mov_b32_e32 v203, v9
	v_pk_fma_f32 v[8:9], v[250:251], s[14:15], v[6:7] op_sel:[0,0,1] op_sel_hi:[1,0,0]
	v_pk_fma_f32 v[74:75], v[250:251], s[14:15], v[6:7] op_sel:[0,0,1] op_sel_hi:[1,0,0] neg_lo:[0,0,1] neg_hi:[0,0,1]
	v_mov_b32_e32 v6, v8
	v_mov_b32_e32 v7, v75
	v_pk_add_f32 v[4:5], v[6:7], v[4:5]
	v_pk_mul_f32 v[6:7], v[248:249], s[40:41] op_sel_hi:[1,0]
	v_mov_b32_e32 v207, v9
	v_pk_fma_f32 v[8:9], v[246:247], s[12:13], v[6:7] op_sel:[0,0,1] op_sel_hi:[1,0,0]
	v_pk_fma_f32 v[78:79], v[246:247], s[12:13], v[6:7] op_sel:[0,0,1] op_sel_hi:[1,0,0] neg_lo:[0,0,1] neg_hi:[0,0,1]
	;; [unrolled: 7-line block ×7, first 2 shown]
	v_mov_b32_e32 v6, v8
	v_mov_b32_e32 v71, v9
	v_pk_mul_f32 v[8:9], v[162:163], s[50:51] op_sel_hi:[1,0]
	v_mov_b32_e32 v7, v129
	v_pk_fma_f32 v[10:11], v[254:255], s[24:25], v[8:9] op_sel:[0,0,1] op_sel_hi:[1,0,0]
	v_pk_fma_f32 v[132:133], v[254:255], s[24:25], v[8:9] op_sel:[0,0,1] op_sel_hi:[1,0,0] neg_lo:[0,0,1] neg_hi:[0,0,1]
	v_pk_add_f32 v[6:7], v[64:65], v[6:7]
	v_mov_b32_e32 v8, v10
	v_mov_b32_e32 v9, v133
	v_pk_add_f32 v[6:7], v[8:9], v[6:7]
	v_pk_mul_f32 v[8:9], v[252:253], s[42:43] op_sel_hi:[1,0]
	v_mov_b32_e32 v75, v11
	v_pk_fma_f32 v[10:11], v[250:251], s[0:1], v[8:9] op_sel:[0,0,1] op_sel_hi:[1,0,0]
	v_pk_fma_f32 v[136:137], v[250:251], s[0:1], v[8:9] op_sel:[0,0,1] op_sel_hi:[1,0,0] neg_lo:[0,0,1] neg_hi:[0,0,1]
	v_mov_b32_e32 v8, v10
	v_mov_b32_e32 v9, v137
	v_pk_add_f32 v[6:7], v[8:9], v[6:7]
	v_pk_mul_f32 v[8:9], v[248:249], s[44:45] op_sel_hi:[1,0]
	v_mov_b32_e32 v79, v11
	v_pk_fma_f32 v[10:11], v[246:247], s[8:9], v[8:9] op_sel:[0,0,1] op_sel_hi:[1,0,0]
	v_pk_fma_f32 v[140:141], v[246:247], s[8:9], v[8:9] op_sel:[0,0,1] op_sel_hi:[1,0,0] neg_lo:[0,0,1] neg_hi:[0,0,1]
	v_mov_b32_e32 v8, v10
	v_mov_b32_e32 v9, v141
	v_pk_add_f32 v[6:7], v[8:9], v[6:7]
	v_pk_mul_f32 v[8:9], v[244:245], s[34:35] op_sel_hi:[1,0]
	v_mov_b32_e32 v115, v11
	v_pk_fma_f32 v[10:11], v[240:241], s[30:31], v[8:9] op_sel:[0,0,1] op_sel_hi:[1,0,0]
	v_pk_fma_f32 v[144:145], v[240:241], s[30:31], v[8:9] op_sel:[0,0,1] op_sel_hi:[1,0,0] neg_lo:[0,0,1] neg_hi:[0,0,1]
	v_mov_b32_e32 v8, v10
	v_mov_b32_e32 v9, v145
	v_pk_add_f32 v[6:7], v[8:9], v[6:7]
	v_pk_mul_f32 v[8:9], v[238:239], s[48:49] op_sel_hi:[1,0]
	v_mov_b32_e32 v119, v11
	v_pk_fma_f32 v[10:11], v[236:237], s[10:11], v[8:9] op_sel:[0,0,1] op_sel_hi:[1,0,0]
	v_pk_fma_f32 v[148:149], v[236:237], s[10:11], v[8:9] op_sel:[0,0,1] op_sel_hi:[1,0,0] neg_lo:[0,0,1] neg_hi:[0,0,1]
	v_mov_b32_e32 v8, v10
	v_mov_b32_e32 v9, v149
	v_pk_add_f32 v[6:7], v[8:9], v[6:7]
	v_pk_mul_f32 v[8:9], v[234:235], s[20:21] op_sel_hi:[1,0]
	v_mov_b32_e32 v123, v11
	v_pk_fma_f32 v[10:11], v[232:233], s[12:13], v[8:9] op_sel:[0,0,1] op_sel_hi:[1,0,0]
	v_pk_fma_f32 v[152:153], v[232:233], s[12:13], v[8:9] op_sel:[0,0,1] op_sel_hi:[1,0,0] neg_lo:[0,0,1] neg_hi:[0,0,1]
	v_mov_b32_e32 v8, v10
	v_mov_b32_e32 v9, v153
	v_pk_add_f32 v[6:7], v[8:9], v[6:7]
	v_pk_mul_f32 v[8:9], v[230:231], s[22:23] op_sel_hi:[1,0]
	v_mov_b32_e32 v127, v11
	v_pk_fma_f32 v[10:11], v[228:229], s[18:19], v[8:9] op_sel:[0,0,1] op_sel_hi:[1,0,0]
	v_pk_fma_f32 v[170:171], v[228:229], s[18:19], v[8:9] op_sel:[0,0,1] op_sel_hi:[1,0,0] neg_lo:[0,0,1] neg_hi:[0,0,1]
	v_mov_b32_e32 v8, v10
	v_mov_b32_e32 v9, v171
	v_pk_add_f32 v[6:7], v[8:9], v[6:7]
	ds_write2_b64 v82, v[4:5], v[6:7] offset0:4 offset1:5
	v_pk_mul_f32 v[4:5], v[174:175], s[22:23] op_sel_hi:[1,0]
	v_accvgpr_write_b32 a105, v11
	v_pk_fma_f32 v[8:9], v[166:167], s[18:19], v[4:5] op_sel:[0,0,1] op_sel_hi:[1,0,0]
	v_pk_fma_f32 v[4:5], v[166:167], s[18:19], v[4:5] op_sel:[0,0,1] op_sel_hi:[1,0,0] neg_lo:[0,0,1] neg_hi:[0,0,1]
	v_pk_mul_f32 v[10:11], v[162:163], s[46:47] op_sel_hi:[1,0]
	v_mov_b32_e32 v129, v9
	v_mov_b32_e32 v9, v5
	v_pk_fma_f32 v[6:7], v[254:255], s[14:15], v[10:11] op_sel:[0,0,1] op_sel_hi:[1,0,0]
	v_pk_fma_f32 v[10:11], v[254:255], s[14:15], v[10:11] op_sel:[0,0,1] op_sel_hi:[1,0,0] neg_lo:[0,0,1] neg_hi:[0,0,1]
	v_accvgpr_write_b32 a55, v15
	v_pk_add_f32 v[8:9], v[64:65], v[8:9]
	v_accvgpr_write_b32 a54, v14
	v_accvgpr_write_b32 a53, v13
	;; [unrolled: 1-line block ×3, first 2 shown]
	v_mov_b32_e32 v14, v6
	v_mov_b32_e32 v15, v11
	v_pk_add_f32 v[8:9], v[14:15], v[8:9]
	v_pk_mul_f32 v[14:15], v[252:253], s[20:21] op_sel_hi:[1,0]
	v_mov_b32_e32 v133, v7
	v_pk_fma_f32 v[6:7], v[250:251], s[12:13], v[14:15] op_sel:[0,0,1] op_sel_hi:[1,0,0]
	v_pk_fma_f32 v[14:15], v[250:251], s[12:13], v[14:15] op_sel:[0,0,1] op_sel_hi:[1,0,0] neg_lo:[0,0,1] neg_hi:[0,0,1]
	v_accvgpr_write_b32 a63, v19
	v_accvgpr_write_b32 a62, v18
	;; [unrolled: 1-line block ×4, first 2 shown]
	v_mov_b32_e32 v18, v6
	v_mov_b32_e32 v19, v15
	v_pk_add_f32 v[8:9], v[18:19], v[8:9]
	v_pk_mul_f32 v[18:19], v[248:249], s[26:27] op_sel_hi:[1,0]
	v_mov_b32_e32 v137, v7
	v_pk_fma_f32 v[30:31], v[246:247], s[24:25], v[18:19] op_sel:[0,0,1] op_sel_hi:[1,0,0]
	v_pk_fma_f32 v[18:19], v[246:247], s[24:25], v[18:19] op_sel:[0,0,1] op_sel_hi:[1,0,0] neg_lo:[0,0,1] neg_hi:[0,0,1]
	v_mov_b32_e32 v141, v31
	v_mov_b32_e32 v31, v19
	v_pk_add_f32 v[8:9], v[30:31], v[8:9]
	v_pk_mul_f32 v[30:31], v[244:245], s[48:49] op_sel_hi:[1,0]
	v_accvgpr_write_b32 a67, v35
	v_pk_fma_f32 v[6:7], v[240:241], s[10:11], v[30:31] op_sel:[0,0,1] op_sel_hi:[1,0,0]
	v_pk_fma_f32 v[30:31], v[240:241], s[10:11], v[30:31] op_sel:[0,0,1] op_sel_hi:[1,0,0] neg_lo:[0,0,1] neg_hi:[0,0,1]
	v_accvgpr_write_b32 a66, v34
	v_accvgpr_write_b32 a65, v33
	;; [unrolled: 1-line block ×3, first 2 shown]
	v_mov_b32_e32 v34, v6
	v_mov_b32_e32 v35, v31
	v_pk_add_f32 v[8:9], v[34:35], v[8:9]
	v_pk_mul_f32 v[34:35], v[238:239], s[36:37] op_sel_hi:[1,0]
	v_accvgpr_write_b32 a44, v130
	v_pk_fma_f32 v[38:39], v[236:237], s[0:1], v[34:35] op_sel:[0,0,1] op_sel_hi:[1,0,0]
	v_pk_fma_f32 v[34:35], v[236:237], s[0:1], v[34:35] op_sel:[0,0,1] op_sel_hi:[1,0,0] neg_lo:[0,0,1] neg_hi:[0,0,1]
	v_mov_b32_e32 v149, v39
	v_mov_b32_e32 v39, v35
	v_pk_add_f32 v[8:9], v[38:39], v[8:9]
	v_pk_mul_f32 v[38:39], v[234:235], s[34:35] op_sel_hi:[1,0]
	v_pk_mul_f32 v[16:17], v[162:163], s[38:39] op_sel_hi:[1,0]
	v_pk_fma_f32 v[176:177], v[232:233], s[30:31], v[38:39] op_sel:[0,0,1] op_sel_hi:[1,0,0]
	v_pk_fma_f32 v[38:39], v[232:233], s[30:31], v[38:39] op_sel:[0,0,1] op_sel_hi:[1,0,0] neg_lo:[0,0,1] neg_hi:[0,0,1]
	v_mov_b32_e32 v153, v177
	v_mov_b32_e32 v177, v39
	v_pk_add_f32 v[8:9], v[176:177], v[8:9]
	v_pk_mul_f32 v[176:177], v[230:231], s[38:39] op_sel_hi:[1,0]
	v_accvgpr_write_b32 a45, v131
	v_pk_fma_f32 v[242:243], v[228:229], s[8:9], v[176:177] op_sel:[0,0,1] op_sel_hi:[1,0,0]
	v_pk_fma_f32 v[176:177], v[228:229], s[8:9], v[176:177] op_sel:[0,0,1] op_sel_hi:[1,0,0] neg_lo:[0,0,1] neg_hi:[0,0,1]
	v_mov_b32_e32 v171, v243
	v_mov_b32_e32 v243, v177
	v_pk_add_f32 v[8:9], v[242:243], v[8:9]
	v_pk_mul_f32 v[242:243], v[174:175], s[26:27] op_sel_hi:[1,0]
	v_pk_fma_f32 v[32:33], v[254:255], s[8:9], v[16:17] op_sel:[0,0,1] op_sel_hi:[1,0,0]
	v_pk_fma_f32 v[12:13], v[166:167], s[24:25], v[242:243] op_sel:[0,0,1] op_sel_hi:[1,0,0]
	v_pk_fma_f32 v[242:243], v[166:167], s[24:25], v[242:243] op_sel:[0,0,1] op_sel_hi:[1,0,0] neg_lo:[0,0,1] neg_hi:[0,0,1]
	v_mov_b32_e32 v130, v12
	v_mov_b32_e32 v131, v243
	v_pk_fma_f32 v[16:17], v[254:255], s[8:9], v[16:17] op_sel:[0,0,1] op_sel_hi:[1,0,0] neg_lo:[0,0,1] neg_hi:[0,0,1]
	v_pk_add_f32 v[130:131], v[64:65], v[130:131]
	v_mov_b32_e32 v28, v32
	v_mov_b32_e32 v29, v17
	v_pk_add_f32 v[28:29], v[28:29], v[130:131]
	v_pk_mul_f32 v[130:131], v[252:253], s[28:29] op_sel_hi:[1,0]
	v_accvgpr_write_b32 a86, v158
	v_pk_fma_f32 v[112:113], v[250:251], s[10:11], v[130:131] op_sel:[0,0,1] op_sel_hi:[1,0,0]
	v_pk_fma_f32 v[130:131], v[250:251], s[10:11], v[130:131] op_sel:[0,0,1] op_sel_hi:[1,0,0] neg_lo:[0,0,1] neg_hi:[0,0,1]
	v_mov_b32_e32 v36, v112
	v_mov_b32_e32 v37, v131
	v_pk_add_f32 v[28:29], v[36:37], v[28:29]
	v_pk_mul_f32 v[36:37], v[248:249], s[52:53] op_sel_hi:[1,0]
	v_accvgpr_write_b32 a87, v159
	v_pk_fma_f32 v[158:159], v[246:247], s[18:19], v[36:37] op_sel:[0,0,1] op_sel_hi:[1,0,0]
	v_pk_fma_f32 v[36:37], v[246:247], s[18:19], v[36:37] op_sel:[0,0,1] op_sel_hi:[1,0,0] neg_lo:[0,0,1] neg_hi:[0,0,1]
	v_accvgpr_write_b32 a68, v156
	v_accvgpr_write_b32 a69, v157
	v_mov_b32_e32 v156, v158
	v_mov_b32_e32 v157, v37
	v_pk_add_f32 v[28:29], v[156:157], v[28:29]
	v_pk_mul_f32 v[156:157], v[244:245], s[20:21] op_sel_hi:[1,0]
	v_mov_b32_e32 v67, v82
	v_pk_fma_f32 v[208:209], v[240:241], s[12:13], v[156:157] op_sel:[0,0,1] op_sel_hi:[1,0,0]
	v_pk_fma_f32 v[156:157], v[240:241], s[12:13], v[156:157] op_sel:[0,0,1] op_sel_hi:[1,0,0] neg_lo:[0,0,1] neg_hi:[0,0,1]
	v_mov_b32_e32 v204, v208
	v_mov_b32_e32 v205, v157
	v_pk_add_f32 v[28:29], v[204:205], v[28:29]
	v_pk_mul_f32 v[204:205], v[238:239], s[34:35] op_sel_hi:[1,0]
	v_mov_b32_e32 v145, v7
	v_pk_fma_f32 v[216:217], v[236:237], s[30:31], v[204:205] op_sel:[0,0,1] op_sel_hi:[1,0,0]
	v_pk_fma_f32 v[204:205], v[236:237], s[30:31], v[204:205] op_sel:[0,0,1] op_sel_hi:[1,0,0] neg_lo:[0,0,1] neg_hi:[0,0,1]
	v_mov_b32_e32 v212, v216
	v_mov_b32_e32 v213, v205
	v_pk_add_f32 v[28:29], v[212:213], v[28:29]
	v_pk_mul_f32 v[212:213], v[234:235], s[42:43] op_sel_hi:[1,0]
	v_pk_mul_f32 v[248:249], v[248:249], s[42:43] op_sel_hi:[1,0]
	v_pk_fma_f32 v[224:225], v[232:233], s[0:1], v[212:213] op_sel:[0,0,1] op_sel_hi:[1,0,0]
	v_pk_fma_f32 v[212:213], v[232:233], s[0:1], v[212:213] op_sel:[0,0,1] op_sel_hi:[1,0,0] neg_lo:[0,0,1] neg_hi:[0,0,1]
	v_mov_b32_e32 v220, v224
	v_mov_b32_e32 v221, v213
	v_pk_add_f32 v[28:29], v[220:221], v[28:29]
	v_pk_mul_f32 v[220:221], v[230:231], s[16:17] op_sel_hi:[1,0]
	v_pk_mul_f32 v[244:245], v[244:245], s[22:23] op_sel_hi:[1,0]
	v_pk_fma_f32 v[82:83], v[228:229], s[14:15], v[220:221] op_sel:[0,0,1] op_sel_hi:[1,0,0]
	v_pk_fma_f32 v[220:221], v[228:229], s[14:15], v[220:221] op_sel:[0,0,1] op_sel_hi:[1,0,0] neg_lo:[0,0,1] neg_hi:[0,0,1]
	v_mov_b32_e32 v6, v82
	v_mov_b32_e32 v7, v221
	v_pk_add_f32 v[6:7], v[6:7], v[28:29]
	ds_write2_b64 v67, v[8:9], v[6:7] offset0:6 offset1:7
	v_pk_mul_f32 v[6:7], v[174:175], s[34:35] op_sel_hi:[1,0]
	v_pk_mul_f32 v[28:29], v[162:163], s[40:41] op_sel_hi:[1,0]
	v_pk_fma_f32 v[8:9], v[166:167], s[30:31], v[6:7] op_sel:[0,0,1] op_sel_hi:[1,0,0]
	v_pk_fma_f32 v[6:7], v[166:167], s[30:31], v[6:7] op_sel:[0,0,1] op_sel_hi:[1,0,0] neg_lo:[0,0,1] neg_hi:[0,0,1]
	v_pk_fma_f32 v[162:163], v[254:255], s[12:13], v[28:29] op_sel:[0,0,1] op_sel_hi:[1,0,0]
	v_pk_fma_f32 v[28:29], v[254:255], s[12:13], v[28:29] op_sel:[0,0,1] op_sel_hi:[1,0,0] neg_lo:[0,0,1] neg_hi:[0,0,1]
	v_mov_b32_e32 v166, v8
	v_mov_b32_e32 v167, v7
	v_pk_add_f32 v[166:167], v[64:65], v[166:167]
	v_mov_b32_e32 v174, v162
	v_mov_b32_e32 v175, v29
	v_pk_add_f32 v[166:167], v[174:175], v[166:167]
	v_pk_mul_f32 v[174:175], v[252:253], s[26:27] op_sel_hi:[1,0]
	v_mov_b32_e32 v7, v9
	v_pk_fma_f32 v[252:253], v[250:251], s[24:25], v[174:175] op_sel:[0,0,1] op_sel_hi:[1,0,0]
	v_pk_fma_f32 v[174:175], v[250:251], s[24:25], v[174:175] op_sel:[0,0,1] op_sel_hi:[1,0,0] neg_lo:[0,0,1] neg_hi:[0,0,1]
	v_mov_b32_e32 v250, v252
	v_mov_b32_e32 v251, v175
	v_pk_add_f32 v[166:167], v[250:251], v[166:167]
	v_pk_fma_f32 v[250:251], v[246:247], s[0:1], v[248:249] op_sel:[0,0,1] op_sel_hi:[1,0,0]
	v_pk_fma_f32 v[246:247], v[246:247], s[0:1], v[248:249] op_sel:[0,0,1] op_sel_hi:[1,0,0] neg_lo:[0,0,1] neg_hi:[0,0,1]
	v_mov_b32_e32 v248, v250
	v_mov_b32_e32 v249, v247
	v_pk_add_f32 v[166:167], v[248:249], v[166:167]
	v_pk_fma_f32 v[248:249], v[240:241], s[18:19], v[244:245] op_sel:[0,0,1] op_sel_hi:[1,0,0]
	v_pk_fma_f32 v[240:241], v[240:241], s[18:19], v[244:245] op_sel:[0,0,1] op_sel_hi:[1,0,0] neg_lo:[0,0,1] neg_hi:[0,0,1]
	v_mov_b32_e32 v244, v248
	v_mov_b32_e32 v245, v241
	v_pk_mul_f32 v[238:239], v[238:239], s[38:39] op_sel_hi:[1,0]
	v_mov_b32_e32 v29, v163
	v_pk_add_f32 v[6:7], v[64:65], v[6:7]
	v_pk_add_f32 v[166:167], v[244:245], v[166:167]
	v_pk_fma_f32 v[244:245], v[236:237], s[8:9], v[238:239] op_sel:[0,0,1] op_sel_hi:[1,0,0]
	v_pk_fma_f32 v[236:237], v[236:237], s[8:9], v[238:239] op_sel:[0,0,1] op_sel_hi:[1,0,0] neg_lo:[0,0,1] neg_hi:[0,0,1]
	v_pk_add_f32 v[6:7], v[28:29], v[6:7]
	v_mov_b32_e32 v175, v253
	v_mov_b32_e32 v238, v244
	;; [unrolled: 1-line block ×3, first 2 shown]
	v_pk_mul_f32 v[234:235], v[234:235], s[16:17] op_sel_hi:[1,0]
	v_pk_add_f32 v[6:7], v[174:175], v[6:7]
	v_mov_b32_e32 v247, v251
	v_pk_add_f32 v[166:167], v[238:239], v[166:167]
	v_pk_fma_f32 v[238:239], v[232:233], s[14:15], v[234:235] op_sel:[0,0,1] op_sel_hi:[1,0,0]
	v_pk_fma_f32 v[232:233], v[232:233], s[14:15], v[234:235] op_sel:[0,0,1] op_sel_hi:[1,0,0] neg_lo:[0,0,1] neg_hi:[0,0,1]
	v_pk_add_f32 v[6:7], v[246:247], v[6:7]
	v_mov_b32_e32 v241, v249
	v_mov_b32_e32 v234, v238
	;; [unrolled: 1-line block ×3, first 2 shown]
	v_pk_mul_f32 v[230:231], v[230:231], s[48:49] op_sel_hi:[1,0]
	v_pk_add_f32 v[6:7], v[240:241], v[6:7]
	v_mov_b32_e32 v237, v245
	v_pk_add_f32 v[166:167], v[234:235], v[166:167]
	v_pk_fma_f32 v[234:235], v[228:229], s[10:11], v[230:231] op_sel:[0,0,1] op_sel_hi:[1,0,0]
	v_pk_fma_f32 v[228:229], v[228:229], s[10:11], v[230:231] op_sel:[0,0,1] op_sel_hi:[1,0,0] neg_lo:[0,0,1] neg_hi:[0,0,1]
	v_pk_add_f32 v[6:7], v[236:237], v[6:7]
	v_mov_b32_e32 v233, v239
	v_mov_b32_e32 v230, v234
	;; [unrolled: 1-line block ×3, first 2 shown]
	v_pk_add_f32 v[6:7], v[232:233], v[6:7]
	v_mov_b32_e32 v229, v235
	v_pk_add_f32 v[166:167], v[230:231], v[166:167]
	v_pk_add_f32 v[6:7], v[228:229], v[6:7]
	v_mov_b32_e32 v243, v13
	v_mov_b32_e32 v5, v129
	ds_write2_b64 v67, v[166:167], v[6:7] offset0:8 offset1:9
	v_pk_add_f32 v[6:7], v[64:65], v[242:243]
	v_mov_b32_e32 v17, v33
	v_pk_add_f32 v[4:5], v[64:65], v[4:5]
	v_mov_b32_e32 v11, v133
	;; [unrolled: 2-line block ×14, first 2 shown]
	v_pk_add_f32 v[6:7], v[220:221], v[6:7]
	v_pk_add_f32 v[4:5], v[176:177], v[4:5]
	v_mov_b32_e32 v8, v67
	ds_write2_b64 v67, v[6:7], v[4:5] offset0:10 offset1:11
	v_mov_b32_e32 v129, v71
	v_mov_b32_e32 v67, v173
	v_pk_add_f32 v[4:5], v[64:65], v[128:129]
	v_mov_b32_e32 v133, v75
	v_pk_add_f32 v[6:7], v[64:65], v[66:67]
	v_mov_b32_e32 v71, v203
	v_pk_add_f32 v[4:5], v[132:133], v[4:5]
	v_mov_b32_e32 v137, v79
	v_pk_add_f32 v[6:7], v[70:71], v[6:7]
	v_mov_b32_e32 v75, v207
	v_pk_add_f32 v[4:5], v[136:137], v[4:5]
	v_mov_b32_e32 v141, v115
	v_pk_add_f32 v[6:7], v[74:75], v[6:7]
	v_mov_b32_e32 v79, v211
	v_pk_add_f32 v[4:5], v[140:141], v[4:5]
	v_mov_b32_e32 v145, v119
	v_pk_add_f32 v[6:7], v[78:79], v[6:7]
	v_mov_b32_e32 v115, v215
	v_pk_add_f32 v[4:5], v[144:145], v[4:5]
	v_mov_b32_e32 v149, v123
	v_pk_add_f32 v[6:7], v[114:115], v[6:7]
	v_mov_b32_e32 v119, v219
	v_pk_add_f32 v[4:5], v[148:149], v[4:5]
	v_mov_b32_e32 v153, v127
	v_pk_add_f32 v[6:7], v[118:119], v[6:7]
	v_mov_b32_e32 v123, v223
	v_pk_add_f32 v[4:5], v[152:153], v[4:5]
	v_accvgpr_read_b32 v171, a105
	v_pk_add_f32 v[6:7], v[122:123], v[6:7]
	v_mov_b32_e32 v127, v227
	v_pk_add_f32 v[4:5], v[170:171], v[4:5]
	v_pk_add_f32 v[6:7], v[126:127], v[6:7]
	v_mov_b32_e32 v173, v135
	v_mov_b32_e32 v135, v69
	ds_write2_b64 v8, v[4:5], v[6:7] offset0:12 offset1:13
	v_pk_add_f32 v[4:5], v[64:65], v[172:173]
	v_mov_b32_e32 v203, v139
	v_pk_add_f32 v[6:7], v[64:65], v[134:135]
	v_mov_b32_e32 v139, v73
	;; [unrolled: 2-line block ×14, first 2 shown]
	v_pk_add_f32 v[4:5], v[226:227], v[4:5]
	v_pk_add_f32 v[6:7], v[168:169], v[6:7]
	v_accvgpr_read_b32 v69, a21
	ds_write2_b64 v8, v[4:5], v[6:7] offset0:14 offset1:15
	v_pk_add_f32 v[4:5], v[64:65], v[68:69]
	v_accvgpr_read_b32 v73, a91
	v_pk_add_f32 v[4:5], v[72:73], v[4:5]
	v_accvgpr_read_b32 v77, a93
	;; [unrolled: 2-line block ×7, first 2 shown]
	v_accvgpr_read_b32 v163, a89
	v_accvgpr_read_b32 v131, a45
	;; [unrolled: 1-line block ×7, first 2 shown]
	v_mov_b64_e32 v[148:149], v[22:23]
	v_pk_add_f32 v[4:5], v[154:155], v[4:5]
	v_accvgpr_read_b32 v155, a59
	v_accvgpr_read_b32 v162, a88
	;; [unrolled: 1-line block ×14, first 2 shown]
	v_mov_b64_e32 v[146:147], v[20:21]
	v_accvgpr_read_b32 v65, a71
	v_accvgpr_read_b32 v64, a70
	;; [unrolled: 1-line block ×5, first 2 shown]
	ds_write_b64 v8, v[4:5] offset:128
.LBB0_13:
	s_or_b64 exec, exec, s[56:57]
	v_accvgpr_read_b32 v71, a2
	s_waitcnt lgkmcnt(0)
	; wave barrier
	s_waitcnt lgkmcnt(0)
	ds_read2_b64 v[72:75], v71 offset0:136 offset1:153
	v_add_u32_e32 v70, 0x800, v71
	ds_read2_b64 v[112:115], v70 offset0:16 offset1:33
	ds_read2_b64 v[76:79], v71 offset1:17
	ds_read2_b64 v[116:119], v71 offset0:238 offset1:255
	s_waitcnt lgkmcnt(3)
	v_pk_mul_f32 v[4:5], v[0:1], v[72:73]
	ds_read2_b64 v[120:123], v71 offset0:102 offset1:119
	ds_read2_b64 v[124:127], v70 offset0:118 offset1:135
	v_pk_fma_f32 v[6:7], v[88:89], v[72:73], v[4:5] op_sel:[0,0,1] op_sel_hi:[1,1,0]
	v_pk_fma_f32 v[4:5], v[88:89], v[72:73], v[4:5] op_sel:[0,0,1] op_sel_hi:[1,1,0] neg_lo:[0,0,1] neg_hi:[0,0,1]
	v_accvgpr_read_b32 v128, a26
	v_mov_b32_e32 v7, v5
	s_waitcnt lgkmcnt(4)
	v_pk_mul_f32 v[4:5], v[2:3], v[112:113]
	v_mad_u64_u32 v[68:69], s[0:1], s6, v128, 0
	v_pk_fma_f32 v[8:9], v[90:91], v[112:113], v[4:5] op_sel:[0,0,1] op_sel_hi:[1,1,0]
	v_pk_fma_f32 v[4:5], v[90:91], v[112:113], v[4:5] op_sel:[0,0,1] op_sel_hi:[1,1,0] neg_lo:[0,0,1] neg_hi:[0,0,1]
	s_mov_b32 s0, 0x3f5db3d7
	v_mov_b32_e32 v9, v5
	s_waitcnt lgkmcnt(3)
	v_pk_add_f32 v[4:5], v[76:77], v[6:7]
	v_pk_add_f32 v[10:11], v[6:7], v[8:9]
	;; [unrolled: 1-line block ×3, first 2 shown]
	v_pk_add_f32 v[6:7], v[6:7], v[8:9] neg_lo:[0,1] neg_hi:[0,1]
	s_waitcnt lgkmcnt(2)
	v_pk_mul_f32 v[8:9], v[32:33], v[118:119]
	v_pk_fma_f32 v[10:11], v[10:11], 0.5, v[76:77] op_sel_hi:[1,0,1] neg_lo:[1,0,0] neg_hi:[1,0,0]
	v_pk_fma_f32 v[30:31], v[100:101], v[118:119], v[8:9] op_sel:[0,0,1] op_sel_hi:[1,1,0]
	v_pk_fma_f32 v[8:9], v[100:101], v[118:119], v[8:9] op_sel:[0,0,1] op_sel_hi:[1,1,0] neg_lo:[0,0,1] neg_hi:[0,0,1]
	v_pk_mul_f32 v[6:7], v[6:7], s[0:1] op_sel_hi:[1,0]
	v_mov_b32_e32 v31, v9
	s_waitcnt lgkmcnt(0)
	v_pk_mul_f32 v[8:9], v[34:35], v[126:127]
	v_pk_add_f32 v[28:29], v[10:11], v[6:7] op_sel:[0,1] op_sel_hi:[1,0] neg_lo:[0,1] neg_hi:[0,1]
	v_pk_fma_f32 v[32:33], v[104:105], v[126:127], v[8:9] op_sel:[0,0,1] op_sel_hi:[1,1,0]
	v_pk_fma_f32 v[8:9], v[104:105], v[126:127], v[8:9] op_sel:[0,0,1] op_sel_hi:[1,1,0] neg_lo:[0,0,1] neg_hi:[0,0,1]
	v_pk_add_f32 v[6:7], v[10:11], v[6:7] op_sel:[0,1] op_sel_hi:[1,0]
	v_mov_b32_e32 v33, v9
	v_pk_add_f32 v[8:9], v[122:123], v[30:31]
	v_pk_mul_f32 v[0:1], v[0:1], v[74:75]
	v_pk_add_f32 v[34:35], v[8:9], v[32:33]
	v_pk_mul_f32 v[8:9], v[16:17], v[116:117]
	v_mov_b32_e32 v66, s2
	v_pk_fma_f32 v[36:37], v[102:103], v[116:117], v[8:9] op_sel:[0,0,1] op_sel_hi:[1,1,0]
	v_pk_fma_f32 v[8:9], v[102:103], v[116:117], v[8:9] op_sel:[0,0,1] op_sel_hi:[1,1,0] neg_lo:[0,0,1] neg_hi:[0,0,1]
	v_mov_b32_e32 v67, s3
	v_mov_b32_e32 v37, v9
	v_pk_mul_f32 v[8:9], v[18:19], v[124:125]
	ds_read2_b64 v[16:19], v71 offset0:204 offset1:221
	ds_read2_b64 v[20:23], v71 offset0:68 offset1:85
	ds_read2_b64 v[100:103], v70 offset0:84 offset1:101
	v_pk_fma_f32 v[38:39], v[178:179], v[124:125], v[8:9] op_sel:[0,0,1] op_sel_hi:[1,1,0]
	v_pk_fma_f32 v[8:9], v[178:179], v[124:125], v[8:9] op_sel:[0,0,1] op_sel_hi:[1,1,0] neg_lo:[0,0,1] neg_hi:[0,0,1]
	s_mul_i32 s8, s5, 0x180
	v_mov_b32_e32 v39, v9
	v_pk_add_f32 v[8:9], v[120:121], v[36:37]
	s_nop 0
	v_pk_add_f32 v[72:73], v[8:9], v[38:39]
	s_waitcnt lgkmcnt(2)
	v_pk_mul_f32 v[8:9], v[12:13], v[18:19]
	s_nop 0
	v_pk_fma_f32 v[76:77], v[110:111], v[18:19], v[8:9] op_sel:[0,0,1] op_sel_hi:[1,1,0]
	v_pk_fma_f32 v[8:9], v[110:111], v[18:19], v[8:9] op_sel:[0,0,1] op_sel_hi:[1,1,0] neg_lo:[0,0,1] neg_hi:[0,0,1]
	s_nop 0
	v_mov_b32_e32 v77, v9
	s_waitcnt lgkmcnt(0)
	v_pk_mul_f32 v[8:9], v[14:15], v[102:103]
	s_nop 0
	v_pk_fma_f32 v[80:81], v[182:183], v[102:103], v[8:9] op_sel:[0,0,1] op_sel_hi:[1,1,0]
	v_pk_fma_f32 v[8:9], v[182:183], v[102:103], v[8:9] op_sel:[0,0,1] op_sel_hi:[1,1,0] neg_lo:[0,0,1] neg_hi:[0,0,1]
	s_nop 0
	v_mov_b32_e32 v81, v9
	v_pk_add_f32 v[8:9], v[22:23], v[76:77]
	s_nop 0
	v_pk_add_f32 v[82:83], v[8:9], v[80:81]
	v_pk_mul_f32 v[8:9], v[152:153], v[16:17]
	s_nop 0
	v_pk_fma_f32 v[102:103], v[188:189], v[16:17], v[8:9] op_sel:[0,0,1] op_sel_hi:[1,1,0]
	v_pk_fma_f32 v[8:9], v[188:189], v[16:17], v[8:9] op_sel:[0,0,1] op_sel_hi:[1,1,0] neg_lo:[0,0,1] neg_hi:[0,0,1]
	s_nop 0
	v_mov_b32_e32 v103, v9
	v_pk_mul_f32 v[8:9], v[154:155], v[100:101]
	s_nop 0
	v_pk_fma_f32 v[104:105], v[194:195], v[100:101], v[8:9] op_sel:[0,0,1] op_sel_hi:[1,1,0]
	v_pk_fma_f32 v[8:9], v[194:195], v[100:101], v[8:9] op_sel:[0,0,1] op_sel_hi:[1,1,0] neg_lo:[0,0,1] neg_hi:[0,0,1]
	s_nop 0
	v_mov_b32_e32 v105, v9
	v_pk_add_f32 v[8:9], v[102:103], v[104:105]
	s_nop 0
	v_pk_fma_f32 v[12:13], v[8:9], 0.5, v[20:21] op_sel_hi:[1,0,1] neg_lo:[1,0,0] neg_hi:[1,0,0]
	v_pk_add_f32 v[8:9], v[102:103], v[104:105] neg_lo:[0,1] neg_hi:[0,1]
	s_nop 0
	v_pk_mul_f32 v[14:15], v[8:9], s[0:1] op_sel_hi:[1,0]
	ds_read2_b64 v[8:11], v71 offset0:170 offset1:187
	v_pk_add_f32 v[100:101], v[12:13], v[14:15] op_sel:[0,1] op_sel_hi:[1,0]
	v_pk_add_f32 v[110:111], v[12:13], v[14:15] op_sel:[0,1] op_sel_hi:[1,0] neg_lo:[0,1] neg_hi:[0,1]
	ds_read2_b64 v[12:15], v71 offset0:34 offset1:51
	ds_read2_b64 v[16:19], v70 offset0:50 offset1:67
	s_waitcnt lgkmcnt(0)
	v_pk_mul_f32 v[112:113], v[146:147], v[10:11]
	; wave barrier
	s_nop 0
	v_pk_fma_f32 v[116:117], v[184:185], v[10:11], v[112:113] op_sel:[0,0,1] op_sel_hi:[1,1,0]
	v_pk_fma_f32 v[10:11], v[184:185], v[10:11], v[112:113] op_sel:[0,0,1] op_sel_hi:[1,1,0] neg_lo:[0,0,1] neg_hi:[0,0,1]
	s_nop 0
	v_mov_b32_e32 v117, v11
	v_pk_mul_f32 v[10:11], v[148:149], v[18:19]
	s_nop 0
	v_pk_fma_f32 v[112:113], v[192:193], v[18:19], v[10:11] op_sel:[0,0,1] op_sel_hi:[1,1,0]
	v_pk_fma_f32 v[10:11], v[192:193], v[18:19], v[10:11] op_sel:[0,0,1] op_sel_hi:[1,1,0] neg_lo:[0,0,1] neg_hi:[0,0,1]
	s_nop 0
	v_mov_b32_e32 v113, v11
	v_pk_add_f32 v[10:11], v[116:117], v[112:113]
	v_pk_add_f32 v[18:19], v[116:117], v[112:113] neg_lo:[0,1] neg_hi:[0,1]
	v_pk_fma_f32 v[10:11], v[10:11], 0.5, v[14:15] op_sel_hi:[1,0,1] neg_lo:[1,0,0] neg_hi:[1,0,0]
	v_pk_mul_f32 v[18:19], v[18:19], s[0:1] op_sel_hi:[1,0]
	s_nop 0
	v_pk_add_f32 v[118:119], v[10:11], v[18:19] op_sel:[0,1] op_sel_hi:[1,0]
	v_pk_add_f32 v[10:11], v[10:11], v[18:19] op_sel:[0,1] op_sel_hi:[1,0] neg_lo:[0,1] neg_hi:[0,1]
	v_pk_mul_f32 v[18:19], v[24:25], v[8:9]
	s_nop 0
	v_pk_fma_f32 v[24:25], v[190:191], v[8:9], v[18:19] op_sel:[0,0,1] op_sel_hi:[1,1,0]
	v_pk_fma_f32 v[8:9], v[190:191], v[8:9], v[18:19] op_sel:[0,0,1] op_sel_hi:[1,1,0] neg_lo:[0,0,1] neg_hi:[0,0,1]
	s_nop 0
	v_mov_b32_e32 v25, v9
	v_pk_mul_f32 v[8:9], v[26:27], v[16:17]
	s_nop 0
	v_pk_fma_f32 v[18:19], v[196:197], v[16:17], v[8:9] op_sel:[0,0,1] op_sel_hi:[1,1,0]
	v_pk_fma_f32 v[8:9], v[196:197], v[16:17], v[8:9] op_sel:[0,0,1] op_sel_hi:[1,1,0] neg_lo:[0,0,1] neg_hi:[0,0,1]
	s_nop 0
	v_mov_b32_e32 v19, v9
	v_pk_add_f32 v[8:9], v[24:25], v[18:19]
	v_pk_add_f32 v[16:17], v[24:25], v[18:19] neg_lo:[0,1] neg_hi:[0,1]
	v_pk_fma_f32 v[8:9], v[8:9], 0.5, v[12:13] op_sel_hi:[1,0,1] neg_lo:[1,0,0] neg_hi:[1,0,0]
	v_pk_mul_f32 v[16:17], v[16:17], s[0:1] op_sel_hi:[1,0]
	s_nop 0
	v_pk_add_f32 v[26:27], v[8:9], v[16:17] op_sel:[0,1] op_sel_hi:[1,0]
	v_pk_add_f32 v[8:9], v[8:9], v[16:17] op_sel:[0,1] op_sel_hi:[1,0] neg_lo:[0,1] neg_hi:[0,1]
	v_pk_fma_f32 v[16:17], v[88:89], v[74:75], v[0:1] op_sel:[0,0,1] op_sel_hi:[1,1,0]
	v_pk_fma_f32 v[0:1], v[88:89], v[74:75], v[0:1] op_sel:[0,0,1] op_sel_hi:[1,1,0] neg_lo:[0,0,1] neg_hi:[0,0,1]
	s_nop 0
	v_mov_b32_e32 v17, v1
	v_pk_mul_f32 v[0:1], v[2:3], v[114:115]
	s_nop 0
	v_pk_fma_f32 v[2:3], v[90:91], v[114:115], v[0:1] op_sel:[0,0,1] op_sel_hi:[1,1,0]
	v_pk_fma_f32 v[0:1], v[90:91], v[114:115], v[0:1] op_sel:[0,0,1] op_sel_hi:[1,1,0] neg_lo:[0,0,1] neg_hi:[0,0,1]
	s_nop 0
	v_mov_b32_e32 v3, v1
	v_pk_add_f32 v[0:1], v[16:17], v[2:3]
	v_pk_add_f32 v[74:75], v[16:17], v[2:3] neg_lo:[0,1] neg_hi:[0,1]
	v_pk_fma_f32 v[0:1], v[0:1], 0.5, v[78:79] op_sel_hi:[1,0,1] neg_lo:[1,0,0] neg_hi:[1,0,0]
	v_pk_mul_f32 v[74:75], v[74:75], s[0:1] op_sel_hi:[1,0]
	s_nop 0
	v_pk_add_f32 v[88:89], v[0:1], v[74:75] op_sel:[0,1] op_sel_hi:[1,0]
	v_pk_add_f32 v[0:1], v[0:1], v[74:75] op_sel:[0,1] op_sel_hi:[1,0] neg_lo:[0,1] neg_hi:[0,1]
	v_mov_b32_e32 v74, v28
	v_mov_b32_e32 v75, v7
	ds_write2_b64 v71, v[4:5], v[74:75] offset1:17
	v_pk_add_f32 v[4:5], v[78:79], v[16:17]
	v_mov_b32_e32 v7, v29
	v_pk_add_f32 v[2:3], v[4:5], v[2:3]
	ds_write2_b64 v71, v[6:7], v[2:3] offset0:34 offset1:51
	v_mov_b32_e32 v2, v0
	v_mov_b32_e32 v3, v89
	;; [unrolled: 1-line block ×3, first 2 shown]
	v_pk_add_f32 v[0:1], v[12:13], v[24:25]
	ds_write2_b64 v71, v[2:3], v[88:89] offset0:68 offset1:85
	v_pk_add_f32 v[0:1], v[0:1], v[18:19]
	v_mov_b32_e32 v2, v8
	v_mov_b32_e32 v3, v27
	v_accvgpr_read_b32 v4, a51
	ds_write2_b64 v4, v[0:1], v[2:3] offset0:102 offset1:119
	v_mov_b32_e32 v27, v9
	v_pk_add_f32 v[0:1], v[14:15], v[116:117]
	ds_write_b64 v4, v[26:27] offset:1088
	v_pk_add_f32 v[0:1], v[0:1], v[112:113]
	v_mov_b32_e32 v2, v10
	v_mov_b32_e32 v3, v119
	v_accvgpr_read_b32 v4, a49
	ds_write2_b64 v4, v[0:1], v[2:3] offset0:153 offset1:170
	v_mov_b32_e32 v119, v11
	v_pk_add_f32 v[0:1], v[20:21], v[102:103]
	ds_write_b64 v4, v[118:119] offset:1496
	v_pk_add_f32 v[0:1], v[0:1], v[104:105]
	v_mov_b32_e32 v2, v110
	v_mov_b32_e32 v3, v101
	v_accvgpr_read_b32 v4, a48
	ds_write2_b64 v4, v[0:1], v[2:3] offset0:204 offset1:221
	v_pk_add_f32 v[0:1], v[76:77], v[80:81]
	v_pk_add_f32 v[2:3], v[76:77], v[80:81] neg_lo:[0,1] neg_hi:[0,1]
	v_mov_b32_e32 v101, v111
	v_pk_fma_f32 v[0:1], v[0:1], 0.5, v[22:23] op_sel_hi:[1,0,1] neg_lo:[1,0,0] neg_hi:[1,0,0]
	v_pk_mul_f32 v[2:3], v[2:3], s[0:1] op_sel_hi:[1,0]
	ds_write_b64 v4, v[100:101] offset:1904
	v_pk_add_f32 v[4:5], v[0:1], v[2:3] op_sel:[0,1] op_sel_hi:[1,0] neg_lo:[0,1] neg_hi:[0,1]
	v_pk_add_f32 v[0:1], v[0:1], v[2:3] op_sel:[0,1] op_sel_hi:[1,0]
	v_mov_b32_e32 v2, v4
	v_accvgpr_read_b32 v4, a50
	v_mov_b32_e32 v3, v1
	v_add_u32_e32 v1, 0x400, v4
	ds_write2_b64 v1, v[82:83], v[2:3] offset0:127 offset1:144
	v_mov_b32_e32 v1, v5
	ds_write_b64 v4, v[0:1] offset:2312
	v_pk_add_f32 v[0:1], v[36:37], v[38:39]
	v_pk_add_f32 v[2:3], v[36:37], v[38:39] neg_lo:[0,1] neg_hi:[0,1]
	v_pk_fma_f32 v[0:1], v[0:1], 0.5, v[120:121] op_sel_hi:[1,0,1] neg_lo:[1,0,0] neg_hi:[1,0,0]
	v_pk_mul_f32 v[2:3], v[2:3], s[0:1] op_sel_hi:[1,0]
	s_nop 0
	v_pk_add_f32 v[4:5], v[0:1], v[2:3] op_sel:[0,1] op_sel_hi:[1,0] neg_lo:[0,1] neg_hi:[0,1]
	v_pk_add_f32 v[0:1], v[0:1], v[2:3] op_sel:[0,1] op_sel_hi:[1,0]
	v_mov_b32_e32 v2, v4
	v_accvgpr_read_b32 v4, a47
	v_mov_b32_e32 v3, v1
	v_add_u32_e32 v1, 0x800, v4
	ds_write2_b64 v1, v[72:73], v[2:3] offset0:50 offset1:67
	v_mov_b32_e32 v1, v5
	ds_write_b64 v4, v[0:1] offset:2720
	v_pk_add_f32 v[0:1], v[30:31], v[32:33]
	v_pk_add_f32 v[2:3], v[30:31], v[32:33] neg_lo:[0,1] neg_hi:[0,1]
	v_pk_fma_f32 v[0:1], v[0:1], 0.5, v[122:123] op_sel_hi:[1,0,1] neg_lo:[1,0,0] neg_hi:[1,0,0]
	v_pk_mul_f32 v[2:3], v[2:3], s[0:1] op_sel_hi:[1,0]
	s_mov_b32 s0, 0x3f3504f3
	v_pk_add_f32 v[4:5], v[0:1], v[2:3] op_sel:[0,1] op_sel_hi:[1,0] neg_lo:[0,1] neg_hi:[0,1]
	v_pk_add_f32 v[0:1], v[0:1], v[2:3] op_sel:[0,1] op_sel_hi:[1,0]
	v_mov_b32_e32 v2, v4
	v_accvgpr_read_b32 v4, a46
	v_mov_b32_e32 v3, v1
	v_add_u32_e32 v1, 0x800, v4
	ds_write2_b64 v1, v[34:35], v[2:3] offset0:101 offset1:118
	v_mov_b32_e32 v1, v5
	ds_write_b64 v4, v[0:1] offset:3128
	s_waitcnt lgkmcnt(0)
	; wave barrier
	s_waitcnt lgkmcnt(0)
	ds_read2_b64 v[0:3], v71 offset1:17
	ds_read2_b64 v[4:7], v71 offset0:34 offset1:51
	ds_read2_b64 v[8:11], v71 offset0:102 offset1:119
	;; [unrolled: 1-line block ×7, first 2 shown]
	s_waitcnt lgkmcnt(6)
	v_pk_mul_f32 v[28:29], v[60:61], v[6:7]
	s_nop 0
	v_pk_fma_f32 v[30:31], v[98:99], v[6:7], v[28:29] op_sel:[0,0,1] op_sel_hi:[1,1,0]
	v_pk_fma_f32 v[6:7], v[98:99], v[6:7], v[28:29] op_sel:[0,0,1] op_sel_hi:[1,1,0] neg_lo:[0,0,1] neg_hi:[0,0,1]
	s_nop 0
	v_mov_b32_e32 v31, v7
	s_waitcnt lgkmcnt(5)
	v_pk_mul_f32 v[6:7], v[62:63], v[8:9]
	s_nop 0
	v_pk_fma_f32 v[28:29], v[108:109], v[8:9], v[6:7] op_sel:[0,0,1] op_sel_hi:[1,1,0]
	v_pk_fma_f32 v[6:7], v[108:109], v[8:9], v[6:7] op_sel:[0,0,1] op_sel_hi:[1,1,0] neg_lo:[0,0,1] neg_hi:[0,0,1]
	s_nop 0
	v_mov_b32_e32 v29, v7
	s_waitcnt lgkmcnt(4)
	v_pk_mul_f32 v[6:7], v[56:57], v[14:15]
	s_nop 0
	v_pk_fma_f32 v[8:9], v[200:201], v[14:15], v[6:7] op_sel:[0,0,1] op_sel_hi:[1,1,0]
	v_pk_fma_f32 v[6:7], v[200:201], v[14:15], v[6:7] op_sel:[0,0,1] op_sel_hi:[1,1,0] neg_lo:[0,0,1] neg_hi:[0,0,1]
	s_nop 0
	v_mov_b32_e32 v9, v7
	s_waitcnt lgkmcnt(3)
	v_pk_mul_f32 v[6:7], v[58:59], v[16:17]
	s_nop 0
	v_pk_fma_f32 v[14:15], v[106:107], v[16:17], v[6:7] op_sel:[0,0,1] op_sel_hi:[1,1,0]
	v_pk_fma_f32 v[6:7], v[106:107], v[16:17], v[6:7] op_sel:[0,0,1] op_sel_hi:[1,1,0] neg_lo:[0,0,1] neg_hi:[0,0,1]
	s_nop 0
	v_mov_b32_e32 v15, v7
	s_waitcnt lgkmcnt(2)
	v_pk_mul_f32 v[6:7], v[52:53], v[22:23]
	v_pk_add_f32 v[32:33], v[0:1], v[14:15] neg_lo:[0,1] neg_hi:[0,1]
	v_pk_fma_f32 v[16:17], v[180:181], v[22:23], v[6:7] op_sel:[0,0,1] op_sel_hi:[1,1,0]
	v_pk_fma_f32 v[6:7], v[180:181], v[22:23], v[6:7] op_sel:[0,0,1] op_sel_hi:[1,1,0] neg_lo:[0,0,1] neg_hi:[0,0,1]
	v_pk_fma_f32 v[0:1], v[0:1], 2.0, v[32:33] op_sel_hi:[1,0,1] neg_lo:[0,0,1] neg_hi:[0,0,1]
	v_mov_b32_e32 v17, v7
	s_waitcnt lgkmcnt(1)
	v_pk_mul_f32 v[6:7], v[54:55], v[24:25]
	s_nop 0
	v_pk_fma_f32 v[22:23], v[186:187], v[24:25], v[6:7] op_sel:[0,0,1] op_sel_hi:[1,1,0]
	v_pk_fma_f32 v[6:7], v[186:187], v[24:25], v[6:7] op_sel:[0,0,1] op_sel_hi:[1,1,0] neg_lo:[0,0,1] neg_hi:[0,0,1]
	s_nop 0
	v_mov_b32_e32 v23, v7
	s_waitcnt lgkmcnt(0)
	v_pk_mul_f32 v[6:7], v[156:157], v[74:75]
	v_pk_add_f32 v[34:35], v[28:29], v[22:23] neg_lo:[0,1] neg_hi:[0,1]
	v_pk_fma_f32 v[24:25], v[198:199], v[74:75], v[6:7] op_sel:[0,0,1] op_sel_hi:[1,1,0]
	v_pk_fma_f32 v[6:7], v[198:199], v[74:75], v[6:7] op_sel:[0,0,1] op_sel_hi:[1,1,0] neg_lo:[0,0,1] neg_hi:[0,0,1]
	s_nop 0
	v_mov_b32_e32 v25, v7
	v_pk_fma_f32 v[6:7], v[28:29], 2.0, v[34:35] op_sel_hi:[1,0,1] neg_lo:[0,0,1] neg_hi:[0,0,1]
	v_pk_add_f32 v[28:29], v[30:31], v[16:17] neg_lo:[0,1] neg_hi:[0,1]
	v_pk_add_f32 v[36:37], v[0:1], v[6:7] neg_lo:[0,1] neg_hi:[0,1]
	v_pk_fma_f32 v[14:15], v[30:31], 2.0, v[28:29] op_sel_hi:[1,0,1] neg_lo:[0,0,1] neg_hi:[0,0,1]
	v_pk_add_f32 v[30:31], v[8:9], v[24:25] neg_lo:[0,1] neg_hi:[0,1]
	v_pk_fma_f32 v[0:1], v[0:1], 2.0, v[36:37] op_sel_hi:[1,0,1] neg_lo:[0,0,1] neg_hi:[0,0,1]
	v_pk_fma_f32 v[8:9], v[8:9], 2.0, v[30:31] op_sel_hi:[1,0,1] neg_lo:[0,0,1] neg_hi:[0,0,1]
	s_nop 0
	v_pk_add_f32 v[38:39], v[14:15], v[8:9] neg_lo:[0,1] neg_hi:[0,1]
	s_nop 0
	v_pk_fma_f32 v[6:7], v[14:15], 2.0, v[38:39] op_sel_hi:[1,0,1] neg_lo:[0,0,1] neg_hi:[0,0,1]
	s_nop 0
	v_pk_add_f32 v[56:57], v[0:1], v[6:7] neg_lo:[0,1] neg_hi:[0,1]
	ds_read2_b64 v[6:9], v71 offset0:68 offset1:85
	ds_read2_b64 v[14:17], v71 offset0:170 offset1:187
	;; [unrolled: 1-line block ×4, first 2 shown]
	v_pk_fma_f32 v[0:1], v[0:1], 2.0, v[56:57] op_sel_hi:[1,0,1] neg_lo:[0,0,1] neg_hi:[0,0,1]
	s_waitcnt lgkmcnt(3)
	v_pk_mul_f32 v[48:49], v[48:49], v[6:7]
	s_nop 0
	v_pk_fma_f32 v[58:59], v[158:159], v[6:7], v[48:49] op_sel:[0,0,1] op_sel_hi:[1,1,0]
	v_pk_fma_f32 v[6:7], v[158:159], v[6:7], v[48:49] op_sel:[0,0,1] op_sel_hi:[1,1,0] neg_lo:[0,0,1] neg_hi:[0,0,1]
	s_nop 0
	v_mov_b32_e32 v59, v7
	v_pk_mul_f32 v[6:7], v[50:51], v[10:11]
	s_nop 0
	v_pk_fma_f32 v[48:49], v[162:163], v[10:11], v[6:7] op_sel:[0,0,1] op_sel_hi:[1,1,0]
	v_pk_fma_f32 v[6:7], v[162:163], v[10:11], v[6:7] op_sel:[0,0,1] op_sel_hi:[1,1,0] neg_lo:[0,0,1] neg_hi:[0,0,1]
	s_nop 0
	v_mov_b32_e32 v49, v7
	s_waitcnt lgkmcnt(2)
	v_pk_mul_f32 v[6:7], v[44:45], v[14:15]
	s_nop 0
	v_pk_fma_f32 v[10:11], v[84:85], v[14:15], v[6:7] op_sel:[0,0,1] op_sel_hi:[1,1,0]
	v_pk_fma_f32 v[6:7], v[84:85], v[14:15], v[6:7] op_sel:[0,0,1] op_sel_hi:[1,1,0] neg_lo:[0,0,1] neg_hi:[0,0,1]
	s_nop 0
	v_mov_b32_e32 v11, v7
	v_pk_mul_f32 v[6:7], v[46:47], v[18:19]
	s_nop 0
	v_pk_fma_f32 v[14:15], v[86:87], v[18:19], v[6:7] op_sel:[0,0,1] op_sel_hi:[1,1,0]
	v_pk_fma_f32 v[6:7], v[86:87], v[18:19], v[6:7] op_sel:[0,0,1] op_sel_hi:[1,1,0] neg_lo:[0,0,1] neg_hi:[0,0,1]
	s_nop 0
	v_mov_b32_e32 v15, v7
	s_waitcnt lgkmcnt(1)
	v_pk_mul_f32 v[6:7], v[40:41], v[22:23]
	s_nop 0
	v_pk_fma_f32 v[18:19], v[92:93], v[22:23], v[6:7] op_sel:[0,0,1] op_sel_hi:[1,1,0]
	v_pk_fma_f32 v[6:7], v[92:93], v[22:23], v[6:7] op_sel:[0,0,1] op_sel_hi:[1,1,0] neg_lo:[0,0,1] neg_hi:[0,0,1]
	s_nop 0
	v_mov_b32_e32 v19, v7
	v_pk_mul_f32 v[6:7], v[42:43], v[26:27]
	v_pk_add_f32 v[18:19], v[58:59], v[18:19] neg_lo:[0,1] neg_hi:[0,1]
	v_pk_fma_f32 v[22:23], v[94:95], v[26:27], v[6:7] op_sel:[0,0,1] op_sel_hi:[1,1,0]
	v_pk_fma_f32 v[6:7], v[94:95], v[26:27], v[6:7] op_sel:[0,0,1] op_sel_hi:[1,1,0] neg_lo:[0,0,1] neg_hi:[0,0,1]
	v_pk_fma_f32 v[40:41], v[58:59], 2.0, v[18:19] op_sel_hi:[1,0,1] neg_lo:[0,0,1] neg_hi:[0,0,1]
	v_mov_b32_e32 v23, v7
	s_waitcnt lgkmcnt(0)
	v_pk_mul_f32 v[6:7], v[130:131], v[52:53]
	s_nop 0
	v_pk_fma_f32 v[26:27], v[96:97], v[52:53], v[6:7] op_sel:[0,0,1] op_sel_hi:[1,1,0]
	v_pk_fma_f32 v[6:7], v[96:97], v[52:53], v[6:7] op_sel:[0,0,1] op_sel_hi:[1,1,0] neg_lo:[0,0,1] neg_hi:[0,0,1]
	s_nop 0
	v_mov_b32_e32 v27, v7
	v_pk_add_f32 v[6:7], v[2:3], v[14:15] neg_lo:[0,1] neg_hi:[0,1]
	v_pk_add_f32 v[14:15], v[48:49], v[22:23] neg_lo:[0,1] neg_hi:[0,1]
	;; [unrolled: 1-line block ×3, first 2 shown]
	v_pk_fma_f32 v[22:23], v[48:49], 2.0, v[14:15] op_sel_hi:[1,0,1] neg_lo:[0,0,1] neg_hi:[0,0,1]
	v_accvgpr_read_b32 v46, a82
	v_accvgpr_read_b32 v47, a83
	v_pk_mul_f32 v[42:43], v[46:47], v[8:9] op_sel:[1,0]
	v_accvgpr_read_b32 v48, a84
	v_accvgpr_read_b32 v49, a85
	v_pk_fma_f32 v[44:45], v[46:47], v[8:9], v[42:43] op_sel:[0,0,1] op_sel_hi:[1,1,0]
	v_pk_fma_f32 v[8:9], v[46:47], v[8:9], v[42:43] op_sel:[0,0,1] op_sel_hi:[0,1,0] neg_lo:[0,0,1] neg_hi:[0,0,1]
	v_mov_b32_e32 v45, v9
	v_pk_mul_f32 v[8:9], v[48:49], v[12:13] op_sel:[1,0]
	v_pk_fma_f32 v[2:3], v[2:3], 2.0, v[6:7] op_sel_hi:[1,0,1] neg_lo:[0,0,1] neg_hi:[0,0,1]
	v_pk_fma_f32 v[42:43], v[48:49], v[12:13], v[8:9] op_sel:[0,0,1] op_sel_hi:[1,1,0]
	v_pk_fma_f32 v[8:9], v[48:49], v[12:13], v[8:9] op_sel:[0,0,1] op_sel_hi:[0,1,0] neg_lo:[0,0,1] neg_hi:[0,0,1]
	v_accvgpr_read_b32 v46, a78
	v_accvgpr_read_b32 v47, a79
	v_mov_b32_e32 v43, v9
	v_pk_mul_f32 v[8:9], v[46:47], v[16:17] op_sel:[1,0]
	v_accvgpr_read_b32 v48, a80
	v_accvgpr_read_b32 v49, a81
	v_pk_fma_f32 v[12:13], v[46:47], v[16:17], v[8:9] op_sel:[0,0,1] op_sel_hi:[1,1,0]
	v_pk_fma_f32 v[8:9], v[46:47], v[16:17], v[8:9] op_sel:[0,0,1] op_sel_hi:[0,1,0] neg_lo:[0,0,1] neg_hi:[0,0,1]
	v_mov_b32_e32 v13, v9
	v_pk_mul_f32 v[8:9], v[48:49], v[20:21] op_sel:[1,0]
	v_pk_fma_f32 v[10:11], v[10:11], 2.0, v[26:27] op_sel_hi:[1,0,1] neg_lo:[0,0,1] neg_hi:[0,0,1]
	v_pk_fma_f32 v[16:17], v[48:49], v[20:21], v[8:9] op_sel:[0,0,1] op_sel_hi:[1,1,0]
	v_pk_fma_f32 v[8:9], v[48:49], v[20:21], v[8:9] op_sel:[0,0,1] op_sel_hi:[0,1,0] neg_lo:[0,0,1] neg_hi:[0,0,1]
	v_accvgpr_read_b32 v46, a72
	v_accvgpr_read_b32 v47, a73
	v_mov_b32_e32 v17, v9
	v_pk_mul_f32 v[8:9], v[46:47], v[24:25] op_sel:[1,0]
	v_accvgpr_read_b32 v48, a74
	v_accvgpr_read_b32 v49, a75
	v_pk_fma_f32 v[20:21], v[46:47], v[24:25], v[8:9] op_sel:[0,0,1] op_sel_hi:[1,1,0]
	v_pk_fma_f32 v[8:9], v[46:47], v[24:25], v[8:9] op_sel:[0,0,1] op_sel_hi:[0,1,0] neg_lo:[0,0,1] neg_hi:[0,0,1]
	v_mov_b32_e32 v21, v9
	v_pk_mul_f32 v[8:9], v[48:49], v[72:73] op_sel:[1,0]
	v_pk_add_f32 v[20:21], v[44:45], v[20:21] neg_lo:[0,1] neg_hi:[0,1]
	v_pk_fma_f32 v[24:25], v[48:49], v[72:73], v[8:9] op_sel:[0,0,1] op_sel_hi:[1,1,0]
	v_pk_fma_f32 v[8:9], v[48:49], v[72:73], v[8:9] op_sel:[0,0,1] op_sel_hi:[0,1,0] neg_lo:[0,0,1] neg_hi:[0,0,1]
	v_accvgpr_read_b32 v48, a76
	v_accvgpr_read_b32 v49, a77
	v_mov_b32_e32 v25, v9
	v_pk_mul_f32 v[8:9], v[48:49], v[54:55] op_sel:[1,0]
	v_pk_add_f32 v[22:23], v[2:3], v[22:23] neg_lo:[0,1] neg_hi:[0,1]
	v_pk_fma_f32 v[46:47], v[48:49], v[54:55], v[8:9] op_sel:[0,0,1] op_sel_hi:[1,1,0]
	v_pk_fma_f32 v[8:9], v[48:49], v[54:55], v[8:9] op_sel:[0,0,1] op_sel_hi:[0,1,0] neg_lo:[0,0,1] neg_hi:[0,0,1]
	v_mov_b32_e32 v47, v9
	v_pk_add_f32 v[8:9], v[4:5], v[16:17] neg_lo:[0,1] neg_hi:[0,1]
	v_pk_add_f32 v[16:17], v[42:43], v[24:25] neg_lo:[0,1] neg_hi:[0,1]
	;; [unrolled: 1-line block ×3, first 2 shown]
	v_pk_fma_f32 v[24:25], v[42:43], 2.0, v[16:17] op_sel_hi:[1,0,1] neg_lo:[0,0,1] neg_hi:[0,0,1]
	v_pk_fma_f32 v[42:43], v[44:45], 2.0, v[20:21] op_sel_hi:[1,0,1] neg_lo:[0,0,1] neg_hi:[0,0,1]
	v_pk_add_f32 v[44:45], v[12:13], v[46:47] neg_lo:[0,1] neg_hi:[0,1]
	v_pk_add_f32 v[46:47], v[32:33], v[34:35] op_sel:[0,1] op_sel_hi:[1,0]
	v_pk_add_f32 v[34:35], v[32:33], v[34:35] op_sel:[0,1] op_sel_hi:[1,0] neg_lo:[0,1] neg_hi:[0,1]
	v_pk_fma_f32 v[2:3], v[2:3], 2.0, v[22:23] op_sel_hi:[1,0,1] neg_lo:[0,0,1] neg_hi:[0,0,1]
	v_mov_b32_e32 v47, v35
	v_pk_add_f32 v[34:35], v[28:29], v[30:31] op_sel:[0,1] op_sel_hi:[1,0]
	v_pk_add_f32 v[30:31], v[28:29], v[30:31] op_sel:[0,1] op_sel_hi:[1,0] neg_lo:[0,1] neg_hi:[0,1]
	v_pk_fma_f32 v[32:33], v[32:33], 2.0, v[46:47] op_sel_hi:[1,0,1] neg_lo:[0,0,1] neg_hi:[0,0,1]
	v_mov_b32_e32 v35, v31
	v_pk_fma_f32 v[28:29], v[28:29], 2.0, v[34:35] op_sel_hi:[1,0,1] neg_lo:[0,0,1] neg_hi:[0,0,1]
	v_pk_fma_f32 v[40:41], v[40:41], 2.0, v[10:11] op_sel_hi:[1,0,1] neg_lo:[0,0,1] neg_hi:[0,0,1]
	v_pk_mul_f32 v[30:31], v[28:29], s[0:1] op_sel_hi:[1,0]
	v_pk_fma_f32 v[28:29], v[28:29], s[0:1], v[32:33] op_sel_hi:[1,0,1] neg_lo:[1,0,0] neg_hi:[1,0,0]
	v_pk_add_f32 v[40:41], v[2:3], v[40:41] neg_lo:[0,1] neg_hi:[0,1]
	v_pk_add_f32 v[48:49], v[28:29], v[30:31] op_sel:[0,1] op_sel_hi:[1,0]
	v_pk_add_f32 v[28:29], v[28:29], v[30:31] op_sel:[0,1] op_sel_hi:[1,0] neg_lo:[0,1] neg_hi:[0,1]
	v_pk_add_f32 v[30:31], v[36:37], v[38:39] op_sel:[0,1] op_sel_hi:[1,0]
	v_mov_b32_e32 v49, v29
	v_pk_fma_f32 v[28:29], v[32:33], 2.0, v[48:49] op_sel_hi:[1,0,1] neg_lo:[0,0,1] neg_hi:[0,0,1]
	v_pk_add_f32 v[32:33], v[36:37], v[38:39] op_sel:[0,1] op_sel_hi:[1,0] neg_lo:[0,1] neg_hi:[0,1]
	v_pk_fma_f32 v[2:3], v[2:3], 2.0, v[40:41] op_sel_hi:[1,0,1] neg_lo:[0,0,1] neg_hi:[0,0,1]
	v_mov_b32_e32 v31, v33
	v_pk_fma_f32 v[32:33], v[36:37], 2.0, v[30:31] op_sel_hi:[1,0,1] neg_lo:[0,0,1] neg_hi:[0,0,1]
	v_pk_mul_f32 v[36:37], v[34:35], s[0:1] op_sel_hi:[1,0]
	v_pk_fma_f32 v[34:35], v[34:35], s[0:1], v[46:47] op_sel_hi:[1,0,1]
	v_pk_fma_f32 v[4:5], v[4:5], 2.0, v[8:9] op_sel_hi:[1,0,1] neg_lo:[0,0,1] neg_hi:[0,0,1]
	v_pk_add_f32 v[38:39], v[34:35], v[36:37] op_sel:[0,1] op_sel_hi:[1,0]
	v_pk_add_f32 v[34:35], v[34:35], v[36:37] op_sel:[0,1] op_sel_hi:[1,0] neg_lo:[0,1] neg_hi:[0,1]
	v_pk_fma_f32 v[12:13], v[12:13], 2.0, v[44:45] op_sel_hi:[1,0,1] neg_lo:[0,0,1] neg_hi:[0,0,1]
	v_mov_b32_e32 v39, v35
	v_pk_fma_f32 v[34:35], v[46:47], 2.0, v[38:39] op_sel_hi:[1,0,1] neg_lo:[0,0,1] neg_hi:[0,0,1]
	ds_write2_b64 v71, v[32:33], v[34:35] offset0:102 offset1:153
	ds_write2_b64 v71, v[56:57], v[48:49] offset0:204 offset1:255
	;; [unrolled: 1-line block ×3, first 2 shown]
	ds_write2_b64 v71, v[0:1], v[2:3] offset1:17
	v_pk_add_f32 v[0:1], v[6:7], v[14:15] op_sel:[0,1] op_sel_hi:[1,0]
	v_pk_add_f32 v[2:3], v[6:7], v[14:15] op_sel:[0,1] op_sel_hi:[1,0] neg_lo:[0,1] neg_hi:[0,1]
	v_pk_add_f32 v[14:15], v[18:19], v[26:27] op_sel:[0,1] op_sel_hi:[1,0] neg_lo:[0,1] neg_hi:[0,1]
	v_mov_b32_e32 v1, v3
	v_pk_fma_f32 v[2:3], v[6:7], 2.0, v[0:1] op_sel_hi:[1,0,1] neg_lo:[0,0,1] neg_hi:[0,0,1]
	v_pk_add_f32 v[6:7], v[18:19], v[26:27] op_sel:[0,1] op_sel_hi:[1,0]
	v_pk_add_f32 v[24:25], v[4:5], v[24:25] neg_lo:[0,1] neg_hi:[0,1]
	v_mov_b32_e32 v7, v15
	v_pk_fma_f32 v[14:15], v[18:19], 2.0, v[6:7] op_sel_hi:[1,0,1] neg_lo:[0,0,1] neg_hi:[0,0,1]
	v_pk_add_f32 v[12:13], v[42:43], v[12:13] neg_lo:[0,1] neg_hi:[0,1]
	v_pk_mul_f32 v[18:19], v[14:15], s[0:1] op_sel_hi:[1,0]
	v_pk_fma_f32 v[14:15], v[14:15], s[0:1], v[2:3] op_sel_hi:[1,0,1] neg_lo:[1,0,0] neg_hi:[1,0,0]
	v_pk_fma_f32 v[4:5], v[4:5], 2.0, v[24:25] op_sel_hi:[1,0,1] neg_lo:[0,0,1] neg_hi:[0,0,1]
	v_pk_add_f32 v[26:27], v[14:15], v[18:19] op_sel:[0,1] op_sel_hi:[1,0]
	v_pk_add_f32 v[14:15], v[14:15], v[18:19] op_sel:[0,1] op_sel_hi:[1,0] neg_lo:[0,1] neg_hi:[0,1]
	v_pk_fma_f32 v[42:43], v[42:43], 2.0, v[12:13] op_sel_hi:[1,0,1] neg_lo:[0,0,1] neg_hi:[0,0,1]
	v_mov_b32_e32 v27, v15
	v_pk_add_f32 v[14:15], v[22:23], v[10:11] op_sel:[0,1] op_sel_hi:[1,0]
	v_pk_add_f32 v[10:11], v[22:23], v[10:11] op_sel:[0,1] op_sel_hi:[1,0] neg_lo:[0,1] neg_hi:[0,1]
	v_pk_fma_f32 v[2:3], v[2:3], 2.0, v[26:27] op_sel_hi:[1,0,1] neg_lo:[0,0,1] neg_hi:[0,0,1]
	v_mov_b32_e32 v15, v11
	v_pk_fma_f32 v[10:11], v[22:23], 2.0, v[14:15] op_sel_hi:[1,0,1] neg_lo:[0,0,1] neg_hi:[0,0,1]
	ds_write2_b64 v65, v[2:3], v[10:11] offset0:51 offset1:102
	v_pk_mul_f32 v[2:3], v[6:7], s[0:1] op_sel_hi:[1,0]
	v_pk_fma_f32 v[6:7], v[6:7], s[0:1], v[0:1] op_sel_hi:[1,0,1]
	v_pk_add_f32 v[42:43], v[4:5], v[42:43] neg_lo:[0,1] neg_hi:[0,1]
	v_pk_add_f32 v[10:11], v[6:7], v[2:3] op_sel:[0,1] op_sel_hi:[1,0]
	v_pk_add_f32 v[2:3], v[6:7], v[2:3] op_sel:[0,1] op_sel_hi:[1,0] neg_lo:[0,1] neg_hi:[0,1]
	v_pk_fma_f32 v[4:5], v[4:5], 2.0, v[42:43] op_sel_hi:[1,0,1] neg_lo:[0,0,1] neg_hi:[0,0,1]
	v_mov_b32_e32 v11, v3
	v_pk_fma_f32 v[0:1], v[0:1], 2.0, v[10:11] op_sel_hi:[1,0,1] neg_lo:[0,0,1] neg_hi:[0,0,1]
	ds_write2_b64 v65, v[0:1], v[40:41] offset0:153 offset1:204
	v_add_u32_e32 v0, 0x400, v65
	ds_write2_b64 v0, v[26:27], v[14:15] offset0:127 offset1:178
	ds_write_b64 v65, v[10:11] offset:2856
	ds_write2_b64 v71, v[4:5], v[28:29] offset0:34 offset1:51
	v_pk_add_f32 v[0:1], v[8:9], v[16:17] op_sel:[0,1] op_sel_hi:[1,0]
	v_pk_add_f32 v[2:3], v[8:9], v[16:17] op_sel:[0,1] op_sel_hi:[1,0] neg_lo:[0,1] neg_hi:[0,1]
	v_pk_add_f32 v[4:5], v[20:21], v[44:45] op_sel:[0,1] op_sel_hi:[1,0]
	v_pk_add_f32 v[6:7], v[20:21], v[44:45] op_sel:[0,1] op_sel_hi:[1,0] neg_lo:[0,1] neg_hi:[0,1]
	v_mov_b32_e32 v1, v3
	v_mov_b32_e32 v5, v7
	v_pk_fma_f32 v[2:3], v[8:9], 2.0, v[0:1] op_sel_hi:[1,0,1] neg_lo:[0,0,1] neg_hi:[0,0,1]
	v_pk_fma_f32 v[6:7], v[20:21], 2.0, v[4:5] op_sel_hi:[1,0,1] neg_lo:[0,0,1] neg_hi:[0,0,1]
	s_nop 0
	v_pk_mul_f32 v[8:9], v[6:7], s[0:1] op_sel_hi:[1,0]
	v_pk_fma_f32 v[6:7], v[6:7], s[0:1], v[2:3] op_sel_hi:[1,0,1] neg_lo:[1,0,0] neg_hi:[1,0,0]
	s_nop 0
	v_pk_add_f32 v[10:11], v[6:7], v[8:9] op_sel:[0,1] op_sel_hi:[1,0]
	v_pk_add_f32 v[6:7], v[6:7], v[8:9] op_sel:[0,1] op_sel_hi:[1,0] neg_lo:[0,1] neg_hi:[0,1]
	v_pk_add_f32 v[8:9], v[24:25], v[12:13] op_sel:[0,1] op_sel_hi:[1,0] neg_lo:[0,1] neg_hi:[0,1]
	v_mov_b32_e32 v11, v7
	v_pk_add_f32 v[6:7], v[24:25], v[12:13] op_sel:[0,1] op_sel_hi:[1,0]
	v_pk_fma_f32 v[2:3], v[2:3], 2.0, v[10:11] op_sel_hi:[1,0,1] neg_lo:[0,0,1] neg_hi:[0,0,1]
	v_mov_b32_e32 v7, v9
	v_pk_fma_f32 v[8:9], v[24:25], 2.0, v[6:7] op_sel_hi:[1,0,1] neg_lo:[0,0,1] neg_hi:[0,0,1]
	ds_write2_b64 v64, v[2:3], v[8:9] offset0:51 offset1:102
	v_pk_mul_f32 v[2:3], v[4:5], s[0:1] op_sel_hi:[1,0]
	v_pk_fma_f32 v[4:5], v[4:5], s[0:1], v[0:1] op_sel_hi:[1,0,1]
	v_mov_b32_e32 v12, 0x180
	v_pk_add_f32 v[8:9], v[4:5], v[2:3] op_sel:[0,1] op_sel_hi:[1,0]
	v_pk_add_f32 v[2:3], v[4:5], v[2:3] op_sel:[0,1] op_sel_hi:[1,0] neg_lo:[0,1] neg_hi:[0,1]
	v_mov_b32_e32 v4, v69
	v_mov_b32_e32 v9, v3
	v_pk_fma_f32 v[0:1], v[0:1], 2.0, v[8:9] op_sel_hi:[1,0,1] neg_lo:[0,0,1] neg_hi:[0,0,1]
	ds_write2_b64 v64, v[0:1], v[42:43] offset0:153 offset1:204
	v_add_u32_e32 v0, 0x400, v64
	ds_write2_b64 v0, v[10:11], v[6:7] offset0:127 offset1:178
	ds_write_b64 v64, v[8:9] offset:2856
	s_waitcnt lgkmcnt(0)
	; wave barrier
	s_waitcnt lgkmcnt(0)
	ds_read2_b64 v[0:3], v71 offset1:24
	v_accvgpr_read_b32 v6, a42
	v_mad_u64_u32 v[4:5], s[0:1], s7, v128, v[4:5]
	v_accvgpr_read_b32 v7, a43
	v_mov_b32_e32 v69, v4
	s_waitcnt lgkmcnt(0)
	v_mul_f32_e32 v4, v7, v1
	v_fmac_f32_e32 v4, v6, v0
	v_mul_f32_e32 v0, v7, v0
	s_mov_b32 s0, 0x14141414
	v_fma_f32 v0, v6, v1, -v0
	v_cvt_f64_f32_e32 v[4:5], v4
	s_mov_b32 s1, 0x3f641414
	v_cvt_f64_f32_e32 v[0:1], v0
	v_accvgpr_read_b32 v8, a20
	v_mul_f64 v[4:5], v[4:5], s[0:1]
	v_mul_f64 v[0:1], v[0:1], s[0:1]
	v_mad_u64_u32 v[6:7], s[2:3], s4, v8, 0
	v_cvt_f32_f64_e32 v4, v[4:5]
	v_cvt_f32_f64_e32 v5, v[0:1]
	v_mov_b32_e32 v0, v7
	v_mad_u64_u32 v[0:1], s[2:3], s5, v8, v[0:1]
	v_mov_b32_e32 v7, v0
	v_lshl_add_u64 v[0:1], v[68:69], 3, v[66:67]
	v_accvgpr_read_b32 v10, a40
	v_lshl_add_u64 v[6:7], v[6:7], 3, v[0:1]
	v_accvgpr_read_b32 v11, a41
	global_store_dwordx2 v[6:7], v[4:5], off
	v_mul_f32_e32 v4, v11, v3
	v_fmac_f32_e32 v4, v10, v2
	v_mul_f32_e32 v2, v11, v2
	v_fma_f32 v2, v10, v3, -v2
	v_cvt_f64_f32_e32 v[4:5], v4
	v_cvt_f64_f32_e32 v[2:3], v2
	v_mul_f64 v[4:5], v[4:5], s[0:1]
	v_mul_f64 v[2:3], v[2:3], s[0:1]
	v_cvt_f32_f64_e32 v8, v[4:5]
	v_cvt_f32_f64_e32 v9, v[2:3]
	ds_read2_b64 v[2:5], v71 offset0:48 offset1:72
	s_mul_i32 s2, s5, 24
	s_mul_hi_u32 s3, s4, 24
	s_add_i32 s3, s3, s2
	s_mul_i32 s2, s4, 24
	s_lshl_b64 s[2:3], s[2:3], 3
	v_accvgpr_read_b32 v10, a34
	v_lshl_add_u64 v[6:7], v[6:7], 0, s[2:3]
	v_accvgpr_read_b32 v11, a35
	global_store_dwordx2 v[6:7], v[8:9], off
	s_waitcnt lgkmcnt(0)
	v_mul_f32_e32 v8, v11, v3
	v_fmac_f32_e32 v8, v10, v2
	v_mul_f32_e32 v2, v11, v2
	v_fma_f32 v2, v10, v3, -v2
	v_cvt_f64_f32_e32 v[8:9], v8
	v_cvt_f64_f32_e32 v[2:3], v2
	v_accvgpr_read_b32 v10, a32
	v_mul_f64 v[8:9], v[8:9], s[0:1]
	v_mul_f64 v[2:3], v[2:3], s[0:1]
	v_accvgpr_read_b32 v11, a33
	v_cvt_f32_f64_e32 v8, v[8:9]
	v_cvt_f32_f64_e32 v9, v[2:3]
	v_mul_f32_e32 v2, v11, v5
	v_fmac_f32_e32 v2, v10, v4
	v_cvt_f64_f32_e32 v[2:3], v2
	v_lshl_add_u64 v[6:7], v[6:7], 0, s[2:3]
	v_mul_f64 v[2:3], v[2:3], s[0:1]
	global_store_dwordx2 v[6:7], v[8:9], off
	v_cvt_f32_f64_e32 v8, v[2:3]
	v_mul_f32_e32 v2, v11, v4
	v_fma_f32 v2, v10, v5, -v2
	v_cvt_f64_f32_e32 v[10:11], v2
	ds_read2_b64 v[2:5], v71 offset0:96 offset1:120
	v_mul_f64 v[10:11], v[10:11], s[0:1]
	v_cvt_f32_f64_e32 v9, v[10:11]
	v_accvgpr_read_b32 v10, a38
	v_lshl_add_u64 v[6:7], v[6:7], 0, s[2:3]
	v_accvgpr_read_b32 v11, a39
	global_store_dwordx2 v[6:7], v[8:9], off
	s_waitcnt lgkmcnt(0)
	v_mul_f32_e32 v8, v11, v3
	v_fmac_f32_e32 v8, v10, v2
	v_mul_f32_e32 v2, v11, v2
	v_fma_f32 v2, v10, v3, -v2
	v_cvt_f64_f32_e32 v[8:9], v8
	v_cvt_f64_f32_e32 v[2:3], v2
	v_mul_f64 v[8:9], v[8:9], s[0:1]
	v_mul_f64 v[2:3], v[2:3], s[0:1]
	v_accvgpr_read_b32 v11, a27
	v_cvt_f32_f64_e32 v8, v[8:9]
	v_cvt_f32_f64_e32 v9, v[2:3]
	v_mad_u64_u32 v[2:3], s[6:7], s4, v11, 0
	v_mov_b32_e32 v10, v3
	v_mad_u64_u32 v[10:11], s[6:7], s5, v11, v[10:11]
	v_mov_b32_e32 v3, v10
	v_accvgpr_read_b32 v10, a36
	v_lshl_add_u64 v[2:3], v[2:3], 3, v[0:1]
	v_accvgpr_read_b32 v11, a37
	global_store_dwordx2 v[2:3], v[8:9], off
	v_mul_f32_e32 v2, v11, v5
	v_fmac_f32_e32 v2, v10, v4
	v_cvt_f64_f32_e32 v[2:3], v2
	v_mul_f64 v[2:3], v[2:3], s[0:1]
	v_cvt_f32_f64_e32 v8, v[2:3]
	v_mul_f32_e32 v2, v11, v4
	v_fma_f32 v2, v10, v5, -v2
	v_cvt_f64_f32_e32 v[2:3], v2
	v_mul_f64 v[2:3], v[2:3], s[0:1]
	v_cvt_f32_f64_e32 v9, v[2:3]
	ds_read2_b64 v[2:5], v71 offset0:144 offset1:168
	v_mad_u64_u32 v[6:7], s[6:7], s4, v12, v[6:7]
	v_accvgpr_read_b32 v10, a30
	v_add_u32_e32 v7, s8, v7
	v_accvgpr_read_b32 v11, a31
	global_store_dwordx2 v[6:7], v[8:9], off
	s_waitcnt lgkmcnt(0)
	v_mul_f32_e32 v8, v11, v3
	v_fmac_f32_e32 v8, v10, v2
	v_mul_f32_e32 v2, v11, v2
	v_fma_f32 v2, v10, v3, -v2
	v_cvt_f64_f32_e32 v[8:9], v8
	v_cvt_f64_f32_e32 v[2:3], v2
	v_accvgpr_read_b32 v10, a22
	v_mul_f64 v[8:9], v[8:9], s[0:1]
	v_mul_f64 v[2:3], v[2:3], s[0:1]
	v_accvgpr_read_b32 v11, a23
	v_cvt_f32_f64_e32 v8, v[8:9]
	v_cvt_f32_f64_e32 v9, v[2:3]
	v_mul_f32_e32 v2, v11, v5
	v_fmac_f32_e32 v2, v10, v4
	v_cvt_f64_f32_e32 v[2:3], v2
	v_lshl_add_u64 v[6:7], v[6:7], 0, s[2:3]
	v_mul_f64 v[2:3], v[2:3], s[0:1]
	global_store_dwordx2 v[6:7], v[8:9], off
	v_cvt_f32_f64_e32 v8, v[2:3]
	v_mul_f32_e32 v2, v11, v4
	v_fma_f32 v2, v10, v5, -v2
	v_cvt_f64_f32_e32 v[10:11], v2
	ds_read2_b64 v[2:5], v71 offset0:192 offset1:216
	v_mul_f64 v[10:11], v[10:11], s[0:1]
	v_cvt_f32_f64_e32 v9, v[10:11]
	v_accvgpr_read_b32 v10, a24
	v_lshl_add_u64 v[6:7], v[6:7], 0, s[2:3]
	v_accvgpr_read_b32 v11, a25
	global_store_dwordx2 v[6:7], v[8:9], off
	s_waitcnt lgkmcnt(0)
	v_mul_f32_e32 v8, v11, v3
	v_fmac_f32_e32 v8, v10, v2
	v_mul_f32_e32 v2, v11, v2
	v_fma_f32 v2, v10, v3, -v2
	v_cvt_f64_f32_e32 v[8:9], v8
	v_cvt_f64_f32_e32 v[2:3], v2
	v_mul_f64 v[8:9], v[8:9], s[0:1]
	v_mul_f64 v[2:3], v[2:3], s[0:1]
	v_accvgpr_read_b32 v11, a9
	v_cvt_f32_f64_e32 v8, v[8:9]
	v_cvt_f32_f64_e32 v9, v[2:3]
	v_mad_u64_u32 v[2:3], s[6:7], s4, v11, 0
	v_mov_b32_e32 v10, v3
	v_mad_u64_u32 v[10:11], s[6:7], s5, v11, v[10:11]
	v_mov_b32_e32 v3, v10
	v_accvgpr_read_b32 v10, a28
	v_lshl_add_u64 v[2:3], v[2:3], 3, v[0:1]
	v_accvgpr_read_b32 v11, a29
	global_store_dwordx2 v[2:3], v[8:9], off
	v_mul_f32_e32 v2, v11, v5
	v_fmac_f32_e32 v2, v10, v4
	v_cvt_f64_f32_e32 v[2:3], v2
	v_mul_f64 v[2:3], v[2:3], s[0:1]
	v_cvt_f32_f64_e32 v8, v[2:3]
	v_mul_f32_e32 v2, v11, v4
	v_fma_f32 v2, v10, v5, -v2
	v_cvt_f64_f32_e32 v[2:3], v2
	v_mul_f64 v[2:3], v[2:3], s[0:1]
	v_cvt_f32_f64_e32 v9, v[2:3]
	v_add_u32_e32 v2, 0x400, v71
	ds_read2_b64 v[2:5], v2 offset0:112 offset1:136
	v_mad_u64_u32 v[6:7], s[6:7], s4, v12, v[6:7]
	v_accvgpr_read_b32 v10, a18
	v_add_u32_e32 v7, s8, v7
	v_accvgpr_read_b32 v11, a19
	global_store_dwordx2 v[6:7], v[8:9], off
	s_waitcnt lgkmcnt(0)
	v_mul_f32_e32 v8, v11, v3
	v_fmac_f32_e32 v8, v10, v2
	v_mul_f32_e32 v2, v11, v2
	v_fma_f32 v2, v10, v3, -v2
	v_cvt_f64_f32_e32 v[8:9], v8
	v_cvt_f64_f32_e32 v[2:3], v2
	v_accvgpr_read_b32 v10, a12
	v_mul_f64 v[8:9], v[8:9], s[0:1]
	v_mul_f64 v[2:3], v[2:3], s[0:1]
	v_accvgpr_read_b32 v11, a13
	v_cvt_f32_f64_e32 v8, v[8:9]
	v_cvt_f32_f64_e32 v9, v[2:3]
	v_mul_f32_e32 v2, v11, v5
	v_fmac_f32_e32 v2, v10, v4
	v_cvt_f64_f32_e32 v[2:3], v2
	v_lshl_add_u64 v[6:7], v[6:7], 0, s[2:3]
	v_mul_f64 v[2:3], v[2:3], s[0:1]
	global_store_dwordx2 v[6:7], v[8:9], off
	v_cvt_f32_f64_e32 v8, v[2:3]
	v_mul_f32_e32 v2, v11, v4
	v_fma_f32 v2, v10, v5, -v2
	v_cvt_f64_f32_e32 v[10:11], v2
	ds_read2_b64 v[2:5], v70 offset0:32 offset1:56
	v_mul_f64 v[10:11], v[10:11], s[0:1]
	v_cvt_f32_f64_e32 v9, v[10:11]
	v_accvgpr_read_b32 v10, a16
	v_lshl_add_u64 v[6:7], v[6:7], 0, s[2:3]
	v_accvgpr_read_b32 v11, a17
	global_store_dwordx2 v[6:7], v[8:9], off
	s_waitcnt lgkmcnt(0)
	v_mul_f32_e32 v8, v11, v3
	v_fmac_f32_e32 v8, v10, v2
	v_mul_f32_e32 v2, v11, v2
	v_fma_f32 v2, v10, v3, -v2
	v_cvt_f64_f32_e32 v[8:9], v8
	v_cvt_f64_f32_e32 v[2:3], v2
	v_mul_f64 v[8:9], v[8:9], s[0:1]
	v_mul_f64 v[2:3], v[2:3], s[0:1]
	v_accvgpr_read_b32 v11, a8
	v_cvt_f32_f64_e32 v8, v[8:9]
	v_cvt_f32_f64_e32 v9, v[2:3]
	v_mad_u64_u32 v[2:3], s[6:7], s4, v11, 0
	v_mov_b32_e32 v10, v3
	v_mad_u64_u32 v[10:11], s[6:7], s5, v11, v[10:11]
	v_mov_b32_e32 v3, v10
	v_accvgpr_read_b32 v10, a14
	v_lshl_add_u64 v[2:3], v[2:3], 3, v[0:1]
	v_accvgpr_read_b32 v11, a15
	global_store_dwordx2 v[2:3], v[8:9], off
	v_mul_f32_e32 v2, v11, v5
	v_fmac_f32_e32 v2, v10, v4
	v_cvt_f64_f32_e32 v[2:3], v2
	v_mul_f64 v[2:3], v[2:3], s[0:1]
	v_cvt_f32_f64_e32 v8, v[2:3]
	v_mul_f32_e32 v2, v11, v4
	v_fma_f32 v2, v10, v5, -v2
	v_cvt_f64_f32_e32 v[2:3], v2
	v_mul_f64 v[2:3], v[2:3], s[0:1]
	v_cvt_f32_f64_e32 v9, v[2:3]
	ds_read2_b64 v[2:5], v70 offset0:80 offset1:104
	v_mad_u64_u32 v[6:7], s[6:7], s4, v12, v[6:7]
	v_accvgpr_read_b32 v10, a10
	v_add_u32_e32 v7, s8, v7
	v_accvgpr_read_b32 v11, a11
	global_store_dwordx2 v[6:7], v[8:9], off
	s_waitcnt lgkmcnt(0)
	v_mul_f32_e32 v8, v11, v3
	v_fmac_f32_e32 v8, v10, v2
	v_mul_f32_e32 v2, v11, v2
	v_fma_f32 v2, v10, v3, -v2
	v_cvt_f64_f32_e32 v[8:9], v8
	v_cvt_f64_f32_e32 v[2:3], v2
	v_mul_f64 v[8:9], v[8:9], s[0:1]
	v_mul_f64 v[2:3], v[2:3], s[0:1]
	v_cvt_f32_f64_e32 v8, v[8:9]
	v_cvt_f32_f64_e32 v9, v[2:3]
	v_lshl_add_u64 v[2:3], v[6:7], 0, s[2:3]
	global_store_dwordx2 v[2:3], v[8:9], off
	v_accvgpr_read_b32 v9, a7
	v_accvgpr_read_b32 v8, a6
	v_mul_f32_e32 v6, v9, v5
	v_fmac_f32_e32 v6, v8, v4
	v_mul_f32_e32 v4, v9, v4
	v_fma_f32 v4, v8, v5, -v4
	ds_read_b64 v[8:9], v71 offset:3072
	v_cvt_f64_f32_e32 v[6:7], v6
	v_cvt_f64_f32_e32 v[4:5], v4
	v_mul_f64 v[6:7], v[6:7], s[0:1]
	v_mul_f64 v[4:5], v[4:5], s[0:1]
	v_cvt_f32_f64_e32 v6, v[6:7]
	v_cvt_f32_f64_e32 v7, v[4:5]
	v_lshl_add_u64 v[2:3], v[2:3], 0, s[2:3]
	global_store_dwordx2 v[2:3], v[6:7], off
	v_accvgpr_read_b32 v7, a5
	v_accvgpr_read_b32 v6, a4
	s_waitcnt lgkmcnt(0)
	v_mul_f32_e32 v4, v7, v9
	v_fmac_f32_e32 v4, v6, v8
	v_cvt_f64_f32_e32 v[4:5], v4
	v_mul_f64 v[4:5], v[4:5], s[0:1]
	v_cvt_f32_f64_e32 v4, v[4:5]
	v_mul_f32_e32 v5, v7, v8
	v_fma_f32 v5, v6, v9, -v5
	v_cvt_f64_f32_e32 v[6:7], v5
	v_mul_f64 v[6:7], v[6:7], s[0:1]
	v_accvgpr_read_b32 v9, a3
	v_cvt_f32_f64_e32 v5, v[6:7]
	v_mad_u64_u32 v[6:7], s[6:7], s4, v9, 0
	v_mov_b32_e32 v8, v7
	v_mad_u64_u32 v[8:9], s[6:7], s5, v9, v[8:9]
	v_mov_b32_e32 v7, v8
	v_lshl_add_u64 v[0:1], v[6:7], 3, v[0:1]
	global_store_dwordx2 v[0:1], v[4:5], off
	s_and_b64 exec, exec, vcc
	s_cbranch_execz .LBB0_15
; %bb.14:
	v_accvgpr_read_b32 v11, a1
	v_accvgpr_read_b32 v10, a0
	global_load_dwordx2 v[0:1], v[10:11], off offset:136
	ds_read2_b64 v[4:7], v71 offset0:17 offset1:41
	v_mov_b32_e32 v8, 0xfffff548
	v_mad_u64_u32 v[2:3], s[6:7], s4, v8, v[2:3]
	s_mulk_i32 s5, 0xf548
	s_sub_i32 s4, s5, s4
	v_add_u32_e32 v3, s4, v3
	s_waitcnt vmcnt(0) lgkmcnt(0)
	v_mul_f32_e32 v8, v5, v1
	v_mul_f32_e32 v1, v4, v1
	v_fmac_f32_e32 v8, v4, v0
	v_fma_f32 v4, v0, v5, -v1
	v_cvt_f64_f32_e32 v[0:1], v8
	v_cvt_f64_f32_e32 v[4:5], v4
	v_mul_f64 v[0:1], v[0:1], s[0:1]
	v_mul_f64 v[4:5], v[4:5], s[0:1]
	v_cvt_f32_f64_e32 v0, v[0:1]
	v_cvt_f32_f64_e32 v1, v[4:5]
	global_store_dwordx2 v[2:3], v[0:1], off
	global_load_dwordx2 v[0:1], v[10:11], off offset:328
	v_lshl_add_u64 v[4:5], v[2:3], 0, s[2:3]
	s_waitcnt vmcnt(0)
	v_mul_f32_e32 v2, v7, v1
	v_mul_f32_e32 v1, v6, v1
	v_fmac_f32_e32 v2, v6, v0
	v_fma_f32 v3, v0, v7, -v1
	v_cvt_f64_f32_e32 v[0:1], v2
	v_cvt_f64_f32_e32 v[2:3], v3
	v_mul_f64 v[0:1], v[0:1], s[0:1]
	v_mul_f64 v[2:3], v[2:3], s[0:1]
	v_cvt_f32_f64_e32 v0, v[0:1]
	v_cvt_f32_f64_e32 v1, v[2:3]
	global_store_dwordx2 v[4:5], v[0:1], off
	global_load_dwordx2 v[6:7], v[10:11], off offset:520
	ds_read2_b64 v[0:3], v71 offset0:65 offset1:89
	v_lshl_add_u64 v[4:5], v[4:5], 0, s[2:3]
	s_waitcnt vmcnt(0) lgkmcnt(0)
	v_mul_f32_e32 v8, v1, v7
	v_mul_f32_e32 v7, v0, v7
	v_fmac_f32_e32 v8, v0, v6
	v_fma_f32 v6, v6, v1, -v7
	v_cvt_f64_f32_e32 v[0:1], v8
	v_cvt_f64_f32_e32 v[6:7], v6
	v_mul_f64 v[0:1], v[0:1], s[0:1]
	v_mul_f64 v[6:7], v[6:7], s[0:1]
	v_cvt_f32_f64_e32 v0, v[0:1]
	v_cvt_f32_f64_e32 v1, v[6:7]
	global_store_dwordx2 v[4:5], v[0:1], off
	global_load_dwordx2 v[0:1], v[10:11], off offset:712
	v_lshl_add_u64 v[4:5], v[4:5], 0, s[2:3]
	s_waitcnt vmcnt(0)
	v_mul_f32_e32 v6, v3, v1
	v_mul_f32_e32 v1, v2, v1
	v_fmac_f32_e32 v6, v2, v0
	v_fma_f32 v2, v0, v3, -v1
	v_cvt_f64_f32_e32 v[0:1], v6
	v_cvt_f64_f32_e32 v[2:3], v2
	v_mul_f64 v[0:1], v[0:1], s[0:1]
	v_mul_f64 v[2:3], v[2:3], s[0:1]
	v_cvt_f32_f64_e32 v0, v[0:1]
	v_cvt_f32_f64_e32 v1, v[2:3]
	global_store_dwordx2 v[4:5], v[0:1], off
	global_load_dwordx2 v[6:7], v[10:11], off offset:904
	ds_read2_b64 v[0:3], v71 offset0:113 offset1:137
	v_lshl_add_u64 v[4:5], v[4:5], 0, s[2:3]
	;; [unrolled: 29-line block ×7, first 2 shown]
	s_waitcnt vmcnt(0) lgkmcnt(0)
	v_mul_f32_e32 v8, v1, v7
	v_mul_f32_e32 v7, v0, v7
	v_fmac_f32_e32 v8, v0, v6
	v_fma_f32 v6, v6, v1, -v7
	v_cvt_f64_f32_e32 v[0:1], v8
	v_cvt_f64_f32_e32 v[6:7], v6
	v_mul_f64 v[0:1], v[0:1], s[0:1]
	v_mul_f64 v[6:7], v[6:7], s[0:1]
	v_cvt_f32_f64_e32 v0, v[0:1]
	v_cvt_f32_f64_e32 v1, v[6:7]
	global_store_dwordx2 v[4:5], v[0:1], off
	global_load_dwordx2 v[0:1], v[10:11], off offset:3016
	v_lshl_add_u64 v[4:5], v[4:5], 0, s[2:3]
	s_waitcnt vmcnt(0)
	v_mul_f32_e32 v6, v3, v1
	v_mul_f32_e32 v1, v2, v1
	v_fmac_f32_e32 v6, v2, v0
	v_fma_f32 v2, v0, v3, -v1
	v_cvt_f64_f32_e32 v[0:1], v6
	v_cvt_f64_f32_e32 v[2:3], v2
	v_mul_f64 v[0:1], v[0:1], s[0:1]
	v_mul_f64 v[2:3], v[2:3], s[0:1]
	v_cvt_f32_f64_e32 v0, v[0:1]
	v_cvt_f32_f64_e32 v1, v[2:3]
	global_store_dwordx2 v[4:5], v[0:1], off
	global_load_dwordx2 v[0:1], v[10:11], off offset:3208
	ds_read_b64 v[2:3], v71 offset:3208
	s_waitcnt vmcnt(0) lgkmcnt(0)
	v_mul_f32_e32 v6, v3, v1
	v_mul_f32_e32 v1, v2, v1
	v_fmac_f32_e32 v6, v2, v0
	v_fma_f32 v2, v0, v3, -v1
	v_cvt_f64_f32_e32 v[0:1], v6
	v_cvt_f64_f32_e32 v[2:3], v2
	v_mul_f64 v[0:1], v[0:1], s[0:1]
	v_mul_f64 v[2:3], v[2:3], s[0:1]
	v_cvt_f32_f64_e32 v0, v[0:1]
	v_cvt_f32_f64_e32 v1, v[2:3]
	v_lshl_add_u64 v[2:3], v[4:5], 0, s[2:3]
	global_store_dwordx2 v[2:3], v[0:1], off
.LBB0_15:
	s_endpgm
	.section	.rodata,"a",@progbits
	.p2align	6, 0x0
	.amdhsa_kernel bluestein_single_fwd_len408_dim1_sp_op_CI_CI
		.amdhsa_group_segment_fixed_size 9792
		.amdhsa_private_segment_fixed_size 0
		.amdhsa_kernarg_size 104
		.amdhsa_user_sgpr_count 2
		.amdhsa_user_sgpr_dispatch_ptr 0
		.amdhsa_user_sgpr_queue_ptr 0
		.amdhsa_user_sgpr_kernarg_segment_ptr 1
		.amdhsa_user_sgpr_dispatch_id 0
		.amdhsa_user_sgpr_kernarg_preload_length 0
		.amdhsa_user_sgpr_kernarg_preload_offset 0
		.amdhsa_user_sgpr_private_segment_size 0
		.amdhsa_uses_dynamic_stack 0
		.amdhsa_enable_private_segment 0
		.amdhsa_system_sgpr_workgroup_id_x 1
		.amdhsa_system_sgpr_workgroup_id_y 0
		.amdhsa_system_sgpr_workgroup_id_z 0
		.amdhsa_system_sgpr_workgroup_info 0
		.amdhsa_system_vgpr_workitem_id 0
		.amdhsa_next_free_vgpr 448
		.amdhsa_next_free_sgpr 76
		.amdhsa_accum_offset 256
		.amdhsa_reserve_vcc 1
		.amdhsa_float_round_mode_32 0
		.amdhsa_float_round_mode_16_64 0
		.amdhsa_float_denorm_mode_32 3
		.amdhsa_float_denorm_mode_16_64 3
		.amdhsa_dx10_clamp 1
		.amdhsa_ieee_mode 1
		.amdhsa_fp16_overflow 0
		.amdhsa_tg_split 0
		.amdhsa_exception_fp_ieee_invalid_op 0
		.amdhsa_exception_fp_denorm_src 0
		.amdhsa_exception_fp_ieee_div_zero 0
		.amdhsa_exception_fp_ieee_overflow 0
		.amdhsa_exception_fp_ieee_underflow 0
		.amdhsa_exception_fp_ieee_inexact 0
		.amdhsa_exception_int_div_zero 0
	.end_amdhsa_kernel
	.text
.Lfunc_end0:
	.size	bluestein_single_fwd_len408_dim1_sp_op_CI_CI, .Lfunc_end0-bluestein_single_fwd_len408_dim1_sp_op_CI_CI
                                        ; -- End function
	.section	.AMDGPU.csdata,"",@progbits
; Kernel info:
; codeLenInByte = 35912
; NumSgprs: 82
; NumVgprs: 256
; NumAgprs: 192
; TotalNumVgprs: 448
; ScratchSize: 0
; MemoryBound: 0
; FloatMode: 240
; IeeeMode: 1
; LDSByteSize: 9792 bytes/workgroup (compile time only)
; SGPRBlocks: 10
; VGPRBlocks: 55
; NumSGPRsForWavesPerEU: 82
; NumVGPRsForWavesPerEU: 448
; AccumOffset: 256
; Occupancy: 1
; WaveLimiterHint : 1
; COMPUTE_PGM_RSRC2:SCRATCH_EN: 0
; COMPUTE_PGM_RSRC2:USER_SGPR: 2
; COMPUTE_PGM_RSRC2:TRAP_HANDLER: 0
; COMPUTE_PGM_RSRC2:TGID_X_EN: 1
; COMPUTE_PGM_RSRC2:TGID_Y_EN: 0
; COMPUTE_PGM_RSRC2:TGID_Z_EN: 0
; COMPUTE_PGM_RSRC2:TIDIG_COMP_CNT: 0
; COMPUTE_PGM_RSRC3_GFX90A:ACCUM_OFFSET: 63
; COMPUTE_PGM_RSRC3_GFX90A:TG_SPLIT: 0
	.text
	.p2alignl 6, 3212836864
	.fill 256, 4, 3212836864
	.type	__hip_cuid_20c202d9de56c725,@object ; @__hip_cuid_20c202d9de56c725
	.section	.bss,"aw",@nobits
	.globl	__hip_cuid_20c202d9de56c725
__hip_cuid_20c202d9de56c725:
	.byte	0                               ; 0x0
	.size	__hip_cuid_20c202d9de56c725, 1

	.ident	"AMD clang version 19.0.0git (https://github.com/RadeonOpenCompute/llvm-project roc-6.4.0 25133 c7fe45cf4b819c5991fe208aaa96edf142730f1d)"
	.section	".note.GNU-stack","",@progbits
	.addrsig
	.addrsig_sym __hip_cuid_20c202d9de56c725
	.amdgpu_metadata
---
amdhsa.kernels:
  - .agpr_count:     192
    .args:
      - .actual_access:  read_only
        .address_space:  global
        .offset:         0
        .size:           8
        .value_kind:     global_buffer
      - .actual_access:  read_only
        .address_space:  global
        .offset:         8
        .size:           8
        .value_kind:     global_buffer
      - .actual_access:  read_only
        .address_space:  global
        .offset:         16
        .size:           8
        .value_kind:     global_buffer
      - .actual_access:  read_only
        .address_space:  global
        .offset:         24
        .size:           8
        .value_kind:     global_buffer
      - .actual_access:  read_only
        .address_space:  global
        .offset:         32
        .size:           8
        .value_kind:     global_buffer
      - .offset:         40
        .size:           8
        .value_kind:     by_value
      - .address_space:  global
        .offset:         48
        .size:           8
        .value_kind:     global_buffer
      - .address_space:  global
        .offset:         56
        .size:           8
        .value_kind:     global_buffer
      - .address_space:  global
        .offset:         64
        .size:           8
        .value_kind:     global_buffer
      - .address_space:  global
        .offset:         72
        .size:           8
        .value_kind:     global_buffer
      - .offset:         80
        .size:           4
        .value_kind:     by_value
      - .address_space:  global
        .offset:         88
        .size:           8
        .value_kind:     global_buffer
      - .address_space:  global
        .offset:         96
        .size:           8
        .value_kind:     global_buffer
    .group_segment_fixed_size: 9792
    .kernarg_segment_align: 8
    .kernarg_segment_size: 104
    .language:       OpenCL C
    .language_version:
      - 2
      - 0
    .max_flat_workgroup_size: 51
    .name:           bluestein_single_fwd_len408_dim1_sp_op_CI_CI
    .private_segment_fixed_size: 0
    .sgpr_count:     82
    .sgpr_spill_count: 0
    .symbol:         bluestein_single_fwd_len408_dim1_sp_op_CI_CI.kd
    .uniform_work_group_size: 1
    .uses_dynamic_stack: false
    .vgpr_count:     448
    .vgpr_spill_count: 0
    .wavefront_size: 64
amdhsa.target:   amdgcn-amd-amdhsa--gfx950
amdhsa.version:
  - 1
  - 2
...

	.end_amdgpu_metadata
